;; amdgpu-corpus repo=zjin-lcf/HeCBench kind=compiled arch=gfx1100 opt=O3
	.text
	.amdgcn_target "amdgcn-amd-amdhsa--gfx1100"
	.amdhsa_code_object_version 6
	.protected	_Z8loss_bwdI6__halfS0_EvPKT_PKT0_S6_PKlS3_S8_PS4_ ; -- Begin function _Z8loss_bwdI6__halfS0_EvPKT_PKT0_S6_PKlS3_S8_PS4_
	.globl	_Z8loss_bwdI6__halfS0_EvPKT_PKT0_S6_PKlS3_S8_PS4_
	.p2align	8
	.type	_Z8loss_bwdI6__halfS0_EvPKT_PKT0_S6_PKlS3_S8_PS4_,@function
_Z8loss_bwdI6__halfS0_EvPKT_PKT0_S6_PKlS3_S8_PS4_: ; @_Z8loss_bwdI6__halfS0_EvPKT_PKT0_S6_PKlS3_S8_PS4_
; %bb.0:
	v_lshl_add_u32 v0, s14, 6, v0
	s_mov_b32 s2, exec_lo
	s_delay_alu instid0(VALU_DEP_1)
	v_cmpx_gt_i32_e32 0x221c, v0
	s_cbranch_execz .LBB0_4
; %bb.1:
	s_load_b256 s[4:11], s[0:1], 0x18
	v_mad_u64_u32 v[3:4], null, 0x221c, s15, v[0:1]
	s_load_b128 s[16:19], s[0:1], 0x0
	s_mov_b32 s2, exec_lo
	s_delay_alu instid0(VALU_DEP_1) | instskip(NEXT) | instid1(VALU_DEP_1)
	v_ashrrev_i32_e32 v4, 31, v3
	v_lshlrev_b64 v[0:1], 3, v[3:4]
	v_lshlrev_b64 v[4:5], 1, v[3:4]
	s_waitcnt lgkmcnt(0)
	s_delay_alu instid0(VALU_DEP_2) | instskip(NEXT) | instid1(VALU_DEP_3)
	v_add_co_u32 v6, vcc_lo, s8, v0
	v_add_co_ci_u32_e32 v7, vcc_lo, s9, v1, vcc_lo
	v_add_co_u32 v0, vcc_lo, s4, v0
	v_add_co_ci_u32_e32 v1, vcc_lo, s5, v1, vcc_lo
	;; [unrolled: 2-line block ×3, first 2 shown]
	global_load_b64 v[6:7], v[6:7], off
	global_load_b64 v[0:1], v[0:1], off
	global_load_u16 v54, v[8:9], off
	s_waitcnt vmcnt(2)
	v_cmpx_ne_u64_e32 0, v[6:7]
	s_cbranch_execz .LBB0_3
; %bb.2:
	s_load_b64 s[0:1], s[0:1], 0x10
	s_waitcnt vmcnt(1) lgkmcnt(0)
	v_add_co_u32 v1, vcc_lo, s0, v4
	v_add_co_ci_u32_e32 v2, vcc_lo, s1, v5, vcc_lo
	global_load_u16 v1, v[1:2], off
	s_waitcnt vmcnt(0)
	v_add_f16_e32 v54, v54, v1
.LBB0_3:
	s_or_b32 exec_lo, exec_lo, s2
	s_waitcnt vmcnt(1)
	v_mad_u64_u32 v[1:2], null, 0xaa8c0, s15, v[3:4]
	v_add_co_u32 v3, vcc_lo, s6, v4
	v_add_co_ci_u32_e32 v4, vcc_lo, s7, v5, vcc_lo
	s_delay_alu instid0(VALU_DEP_3)
	v_mad_u64_u32 v[5:6], null, 0x221c, v0, v[1:2]
	v_ashrrev_i32_e32 v2, 31, v1
	v_add_nc_u32_e32 v10, 0x221c, v1
	global_load_u16 v55, v[3:4], off
	v_add_nc_u32_e32 v16, 0x8870, v1
	v_add_nc_u32_e32 v12, 0x4438, v1
	v_lshlrev_b64 v[8:9], 1, v[1:2]
	v_ashrrev_i32_e32 v6, 31, v5
	v_ashrrev_i32_e32 v11, 31, v10
	v_add_nc_u32_e32 v2, 0x6654, v1
	v_ashrrev_i32_e32 v17, 31, v16
	v_ashrrev_i32_e32 v13, 31, v12
	v_lshlrev_b64 v[3:4], 1, v[5:6]
	v_add_co_u32 v5, vcc_lo, s16, v8
	v_add_co_ci_u32_e32 v6, vcc_lo, s17, v9, vcc_lo
	v_lshlrev_b64 v[14:15], 1, v[10:11]
	s_delay_alu instid0(VALU_DEP_4)
	v_add_co_u32 v10, vcc_lo, s16, v3
	v_ashrrev_i32_e32 v3, 31, v2
	v_lshlrev_b64 v[30:31], 1, v[16:17]
	v_add_nc_u32_e32 v16, 0xcca8, v1
	v_lshlrev_b64 v[12:13], 1, v[12:13]
	v_add_co_ci_u32_e32 v11, vcc_lo, s17, v4, vcc_lo
	v_lshlrev_b64 v[26:27], 1, v[2:3]
	v_add_nc_u32_e32 v2, 0xaa8c, v1
	v_ashrrev_i32_e32 v17, 31, v16
	v_add_co_u32 v20, vcc_lo, s16, v14
	v_add_co_ci_u32_e32 v21, vcc_lo, s17, v15, vcc_lo
	s_delay_alu instid0(VALU_DEP_4) | instskip(NEXT) | instid1(VALU_DEP_4)
	v_ashrrev_i32_e32 v3, 31, v2
	v_lshlrev_b64 v[38:39], 1, v[16:17]
	v_add_nc_u32_e32 v16, 0x110e0, v1
	v_add_co_u32 v22, vcc_lo, s16, v12
	s_delay_alu instid0(VALU_DEP_4) | instskip(SKIP_1) | instid1(VALU_DEP_4)
	v_lshlrev_b64 v[34:35], 1, v[2:3]
	v_add_nc_u32_e32 v2, 0xeec4, v1
	v_ashrrev_i32_e32 v17, 31, v16
	v_add_co_ci_u32_e32 v23, vcc_lo, s17, v13, vcc_lo
	v_add_co_u32 v24, vcc_lo, s16, v26
	s_delay_alu instid0(VALU_DEP_4) | instskip(NEXT) | instid1(VALU_DEP_4)
	v_ashrrev_i32_e32 v3, 31, v2
	v_lshlrev_b64 v[46:47], 1, v[16:17]
	v_add_nc_u32_e32 v16, 0x15518, v1
	v_add_co_ci_u32_e32 v25, vcc_lo, s17, v27, vcc_lo
	s_delay_alu instid0(VALU_DEP_4) | instskip(SKIP_3) | instid1(VALU_DEP_3)
	v_lshlrev_b64 v[44:45], 1, v[2:3]
	v_add_nc_u32_e32 v2, 0x132fc, v1
	v_add_co_u32 v28, vcc_lo, s16, v30
	v_add_co_ci_u32_e32 v29, vcc_lo, s17, v31, vcc_lo
	v_ashrrev_i32_e32 v3, 31, v2
	v_add_co_u32 v36, vcc_lo, s16, v34
	v_ashrrev_i32_e32 v17, 31, v16
	v_add_co_ci_u32_e32 v37, vcc_lo, s17, v35, vcc_lo
	s_delay_alu instid0(VALU_DEP_4)
	v_lshlrev_b64 v[50:51], 1, v[2:3]
	v_add_nc_u32_e32 v2, 0x17734, v1
	v_add_co_u32 v40, vcc_lo, s16, v38
	v_add_co_ci_u32_e32 v41, vcc_lo, s17, v39, vcc_lo
	v_lshlrev_b64 v[52:53], 1, v[16:17]
	v_add_nc_u32_e32 v16, 0x19950, v1
	v_add_co_u32 v42, vcc_lo, s16, v44
	v_ashrrev_i32_e32 v3, 31, v2
	v_add_co_ci_u32_e32 v43, vcc_lo, s17, v45, vcc_lo
	v_add_co_u32 v48, vcc_lo, s16, v46
	v_ashrrev_i32_e32 v17, 31, v16
	v_add_co_ci_u32_e32 v49, vcc_lo, s17, v47, vcc_lo
	v_add_co_u32 v56, vcc_lo, s16, v50
	v_lshlrev_b64 v[32:33], 1, v[2:3]
	v_add_co_ci_u32_e32 v57, vcc_lo, s17, v51, vcc_lo
	v_add_co_u32 v2, vcc_lo, s16, v52
	v_lshlrev_b64 v[18:19], 1, v[16:17]
	v_add_co_ci_u32_e32 v3, vcc_lo, s17, v53, vcc_lo
	v_add_co_u32 v16, vcc_lo, s16, v32
	v_add_co_ci_u32_e32 v17, vcc_lo, s17, v33, vcc_lo
	s_delay_alu instid0(VALU_DEP_4)
	v_add_co_u32 v65, vcc_lo, s16, v18
	v_add_co_ci_u32_e32 v66, vcc_lo, s17, v19, vcc_lo
	s_clause 0xd
	global_load_u16 v59, v[42:43], off
	global_load_u16 v60, v[48:49], off
	;; [unrolled: 1-line block ×14, first 2 shown]
	v_add_nc_u32_e32 v2, 0x1bb6c, v1
	v_add_nc_u32_e32 v4, 0x243dc, v1
	;; [unrolled: 1-line block ×5, first 2 shown]
	v_ashrrev_i32_e32 v3, 31, v2
	v_ashrrev_i32_e32 v5, 31, v4
	;; [unrolled: 1-line block ×5, first 2 shown]
	v_lshlrev_b64 v[24:25], 1, v[2:3]
	v_lshlrev_b64 v[48:49], 1, v[4:5]
	v_add_nc_u32_e32 v10, 0x28814, v1
	v_add_nc_u32_e32 v76, 0x2ee68, v1
	v_lshlrev_b64 v[42:43], 1, v[6:7]
	v_add_nc_u32_e32 v78, 0x332a0, v1
	v_add_co_u32 v2, vcc_lo, s16, v24
	v_add_co_ci_u32_e32 v3, vcc_lo, s17, v25, vcc_lo
	v_ashrrev_i32_e32 v11, 31, v10
	v_ashrrev_i32_e32 v77, 31, v76
	v_add_nc_u32_e32 v80, 0x354bc, v1
	global_load_u16 v61, v[2:3], off
	v_add_nc_u32_e32 v2, 0x1dd88, v1
	v_lshlrev_b64 v[40:41], 1, v[10:11]
	v_lshlrev_b64 v[10:11], 1, v[76:77]
	v_ashrrev_i32_e32 v79, 31, v78
	v_ashrrev_i32_e32 v81, 31, v80
	;; [unrolled: 1-line block ×3, first 2 shown]
	v_add_nc_u32_e32 v82, 0x376d8, v1
	s_delay_alu instid0(VALU_DEP_4) | instskip(NEXT) | instid1(VALU_DEP_3)
	v_lshlrev_b64 v[4:5], 1, v[78:79]
	v_lshlrev_b64 v[20:21], 1, v[2:3]
	s_delay_alu instid0(VALU_DEP_1) | instskip(NEXT) | instid1(VALU_DEP_2)
	v_add_co_u32 v2, vcc_lo, s16, v20
	v_add_co_ci_u32_e32 v3, vcc_lo, s17, v21, vcc_lo
	global_load_u16 v57, v[2:3], off
	v_add_nc_u32_e32 v2, 0x1ffa4, v1
	s_delay_alu instid0(VALU_DEP_1) | instskip(NEXT) | instid1(VALU_DEP_1)
	v_ashrrev_i32_e32 v3, 31, v2
	v_lshlrev_b64 v[22:23], 1, v[2:3]
	s_delay_alu instid0(VALU_DEP_1) | instskip(NEXT) | instid1(VALU_DEP_2)
	v_add_co_u32 v2, vcc_lo, s16, v22
	v_add_co_ci_u32_e32 v3, vcc_lo, s17, v23, vcc_lo
	global_load_u16 v56, v[2:3], off
	v_add_nc_u32_e32 v2, 0x221c0, v1
	s_delay_alu instid0(VALU_DEP_1) | instskip(NEXT) | instid1(VALU_DEP_1)
	v_ashrrev_i32_e32 v3, 31, v2
	v_lshlrev_b64 v[36:37], 1, v[2:3]
	v_add_nc_u32_e32 v2, 0x31084, v1
	s_delay_alu instid0(VALU_DEP_2) | instskip(NEXT) | instid1(VALU_DEP_3)
	v_add_co_u32 v28, vcc_lo, s16, v36
	v_add_co_ci_u32_e32 v29, vcc_lo, s17, v37, vcc_lo
	s_delay_alu instid0(VALU_DEP_3)
	v_ashrrev_i32_e32 v3, 31, v2
	global_load_u16 v95, v[28:29], off
	v_lshlrev_b64 v[28:29], 1, v[16:17]
	v_lshlrev_b64 v[16:17], 1, v[74:75]
	v_add_co_u32 v74, vcc_lo, s16, v48
	v_add_co_ci_u32_e32 v75, vcc_lo, s17, v49, vcc_lo
	v_add_co_u32 v8, vcc_lo, s10, v8
	v_add_co_ci_u32_e32 v9, vcc_lo, s11, v9, vcc_lo
	;; [unrolled: 2-line block ×4, first 2 shown]
	global_load_u16 v96, v[74:75], off
	v_add_co_u32 v74, vcc_lo, s16, v42
	v_add_co_ci_u32_e32 v75, vcc_lo, s17, v43, vcc_lo
	v_add_co_u32 v76, vcc_lo, s10, v26
	v_add_co_ci_u32_e32 v77, vcc_lo, s11, v27, vcc_lo
	global_load_u16 v26, v[74:75], off
	v_add_co_u32 v74, vcc_lo, s10, v30
	v_add_co_ci_u32_e32 v75, vcc_lo, s11, v31, vcc_lo
	v_add_co_u32 v78, vcc_lo, s10, v34
	v_add_co_ci_u32_e32 v79, vcc_lo, s11, v35, vcc_lo
	v_lshlrev_b64 v[6:7], 1, v[2:3]
	v_lshlrev_b64 v[2:3], 1, v[80:81]
	v_add_co_u32 v80, vcc_lo, s10, v38
	v_add_co_ci_u32_e32 v81, vcc_lo, s11, v39, vcc_lo
	v_add_co_u32 v83, vcc_lo, s10, v44
	v_add_co_ci_u32_e32 v84, vcc_lo, s11, v45, vcc_lo
	;; [unrolled: 2-line block ×6, first 2 shown]
	global_load_u16 v34, v[30:31], off
	v_add_co_u32 v30, vcc_lo, s16, v28
	v_add_co_ci_u32_e32 v31, vcc_lo, s17, v29, vcc_lo
	v_add_co_u32 v44, vcc_lo, s16, v16
	v_add_co_ci_u32_e32 v45, vcc_lo, s17, v17, vcc_lo
	global_load_u16 v38, v[30:31], off
	v_add_co_u32 v87, vcc_lo, s16, v10
	v_add_co_ci_u32_e32 v88, vcc_lo, s17, v11, vcc_lo
	v_add_co_u32 v89, vcc_lo, s16, v6
	v_add_co_ci_u32_e32 v90, vcc_lo, s17, v7, vcc_lo
	;; [unrolled: 2-line block ×4, first 2 shown]
	v_cmp_eq_u32_e32 vcc_lo, 7, v0
	s_clause 0x4
	global_load_u16 v46, v[44:45], off
	global_load_u16 v45, v[87:88], off
	;; [unrolled: 1-line block ×5, first 2 shown]
	s_waitcnt vmcnt(27)
	v_mul_f16_e64 v58, v55, -v54
	s_waitcnt vmcnt(26)
	v_cvt_f32_f16_e32 v27, v59
	s_waitcnt vmcnt(25)
	v_cvt_f32_f16_e32 v35, v60
	;; [unrolled: 2-line block ×5, first 2 shown]
	v_mul_f32_e32 v27, 0x3fb8aa3b, v27
	s_waitcnt vmcnt(20)
	v_mul_f16_e32 v59, v58, v65
	s_waitcnt vmcnt(19)
	v_cvt_f32_f16_e32 v62, v66
	v_dual_mul_f32 v35, 0x3fb8aa3b, v35 :: v_dual_mul_f32 v54, 0x3fb8aa3b, v54
	v_exp_f32_e32 v27, v27
	s_waitcnt vmcnt(17)
	v_cvt_f32_f16_e32 v64, v68
	v_dual_mul_f32 v62, 0x3fb8aa3b, v62 :: v_dual_mul_f32 v39, 0x3fb8aa3b, v39
	v_exp_f32_e32 v35, v35
	;; [unrolled: 4-line block ×3, first 2 shown]
	v_cvt_f32_f16_e32 v65, v69
	s_delay_alu instid0(VALU_DEP_3)
	v_mul_f32_e32 v66, 0x3fb8aa3b, v66
	v_cvt_f16_f32_e32 v27, v27
	v_cvt_f32_f16_e32 v60, v59
	v_exp_f32_e32 v47, v47
	v_cvt_f16_f32_e32 v35, v35
	v_exp_f32_e32 v62, v62
	v_cvt_f32_f16_e32 v69, v27
	v_fma_mix_f32 v27, -v59, v27, v58 op_sel_hi:[1,1,1]
	v_cvt_f16_f32_e32 v39, v39
	v_cvt_f32_f16_e32 v70, v35
	v_cvt_f32_f16_e32 v63, v67
	v_mul_f32_e64 v69, v60, -v69
	s_waitcnt vmcnt(14)
	v_cvt_f32_f16_e32 v67, v71
	v_cvt_f16_f32_e32 v47, v47
	v_fma_mix_f32 v35, -v59, v35, v58 op_sel_hi:[1,1,1]
	v_cvt_f32_f16_e32 v71, v39
	v_mul_f32_e64 v70, v60, -v70
	v_cndmask_b32_e32 v27, v69, v27, vcc_lo
	v_cmp_eq_u32_e32 vcc_lo, 8, v0
	s_waitcnt vmcnt(13)
	v_cvt_f32_f16_e32 v68, v72
	v_cvt_f16_f32_e32 v62, v62
	v_fma_mix_f32 v39, -v59, v39, v58 op_sel_hi:[1,1,1]
	v_cvt_f32_f16_e32 v72, v47
	v_mul_f32_e64 v71, v60, -v71
	v_cndmask_b32_e32 v35, v70, v35, vcc_lo
	v_cmp_eq_u32_e32 vcc_lo, 9, v0
	v_fma_mix_f32 v47, -v59, v47, v58 op_sel_hi:[1,1,1]
	v_cvt_f32_f16_e32 v69, v62
	v_mul_f32_e64 v72, v60, -v72
	v_fma_mix_f32 v62, -v59, v62, v58 op_sel_hi:[1,1,1]
	v_cndmask_b32_e32 v39, v71, v39, vcc_lo
	v_cmp_eq_u32_e32 vcc_lo, 10, v0
	v_mul_f32_e64 v69, v60, -v69
	v_exp_f32_e32 v64, v64
	v_cvt_f32_f16_e32 v55, v73
	v_dual_mul_f32 v68, 0x3fb8aa3b, v68 :: v_dual_cndmask_b32 v47, v72, v47
	v_cmp_eq_u32_e32 vcc_lo, 0, v0
	v_mul_f32_e32 v63, 0x3fb8aa3b, v63
	s_delay_alu instid0(VALU_DEP_4)
	v_mul_f32_e32 v55, 0x3fb8aa3b, v55
	v_exp_f32_e32 v66, v66
	v_exp_f32_e32 v68, v68
	v_cndmask_b32_e32 v62, v69, v62, vcc_lo
	v_exp_f32_e32 v63, v63
	v_cvt_f16_f32_e32 v64, v64
	v_cmp_eq_u32_e32 vcc_lo, 1, v0
	v_exp_f32_e32 v54, v54
	v_cvt_f16_f32_e32 v62, v62
	v_cvt_f16_f32_e32 v27, v27
	v_cvt_f32_f16_e32 v71, v64
	v_fma_mix_f32 v64, -v59, v64, v58 op_sel_hi:[1,1,1]
	v_cvt_f16_f32_e32 v66, v66
	v_cvt_f16_f32_e32 v68, v68
	;; [unrolled: 1-line block ×3, first 2 shown]
	v_mul_f32_e64 v71, v60, -v71
	v_cvt_f16_f32_e32 v35, v35
	v_cvt_f32_f16_e32 v69, v66
	v_fma_mix_f32 v66, -v59, v66, v58 op_sel_hi:[1,1,1]
	v_cvt_f32_f16_e32 v70, v63
	v_fma_mix_f32 v63, -v59, v63, v58 op_sel_hi:[1,1,1]
	v_cvt_f16_f32_e32 v54, v54
	v_mul_f32_e64 v69, v60, -v69
	v_cvt_f16_f32_e32 v39, v39
	v_mul_f32_e64 v70, v60, -v70
	v_cvt_f16_f32_e32 v47, v47
	v_cvt_f32_f16_e32 v73, v54
	v_fma_mix_f32 v54, -v59, v54, v58 op_sel_hi:[1,1,1]
	s_delay_alu instid0(VALU_DEP_4) | instskip(SKIP_3) | instid1(VALU_DEP_4)
	v_cndmask_b32_e32 v63, v70, v63, vcc_lo
	v_cmp_eq_u32_e32 vcc_lo, 2, v0
	v_mul_f32_e32 v65, 0x3fb8aa3b, v65
	v_mul_f32_e64 v73, v60, -v73
	v_cvt_f16_f32_e32 v63, v63
	v_cndmask_b32_e32 v64, v71, v64, vcc_lo
	s_delay_alu instid0(VALU_DEP_4) | instskip(SKIP_4) | instid1(VALU_DEP_4)
	v_exp_f32_e32 v65, v65
	v_cvt_f32_f16_e32 v71, v68
	v_cmp_eq_u32_e32 vcc_lo, 3, v0
	v_fma_mix_f32 v68, -v59, v68, v58 op_sel_hi:[1,1,1]
	v_cvt_f16_f32_e32 v64, v64
	v_mul_f32_e64 v71, v60, -v71
	s_waitcnt_depctr 0xfff
	v_cvt_f16_f32_e32 v65, v65
	s_delay_alu instid0(VALU_DEP_1) | instskip(SKIP_1) | instid1(VALU_DEP_2)
	v_cvt_f32_f16_e32 v72, v65
	v_fma_mix_f32 v65, -v59, v65, v58 op_sel_hi:[1,1,1]
	v_mul_f32_e64 v72, v60, -v72
	s_delay_alu instid0(VALU_DEP_1) | instskip(SKIP_2) | instid1(VALU_DEP_1)
	v_cndmask_b32_e32 v65, v72, v65, vcc_lo
	v_cmp_eq_u32_e32 vcc_lo, 4, v0
	v_dual_mul_f32 v67, 0x3fb8aa3b, v67 :: v_dual_cndmask_b32 v66, v69, v66
	v_exp_f32_e32 v67, v67
	v_cmp_eq_u32_e32 vcc_lo, 5, v0
	s_delay_alu instid0(VALU_DEP_2) | instskip(SKIP_2) | instid1(VALU_DEP_1)
	v_cvt_f16_f32_e32 v66, v66
	s_waitcnt_depctr 0xfff
	v_cvt_f16_f32_e32 v67, v67
	v_cvt_f32_f16_e32 v70, v67
	v_fma_mix_f32 v67, -v59, v67, v58 op_sel_hi:[1,1,1]
	s_delay_alu instid0(VALU_DEP_2) | instskip(NEXT) | instid1(VALU_DEP_1)
	v_mul_f32_e64 v70, v60, -v70
	v_cndmask_b32_e32 v67, v70, v67, vcc_lo
	v_cmp_eq_u32_e32 vcc_lo, 6, v0
	s_delay_alu instid0(VALU_DEP_2) | instskip(SKIP_3) | instid1(VALU_DEP_3)
	v_cvt_f16_f32_e32 v67, v67
	v_cndmask_b32_e32 v68, v71, v68, vcc_lo
	v_cvt_f16_f32_e32 v65, v65
	v_cmp_eq_u32_e32 vcc_lo, 11, v0
	v_cvt_f16_f32_e32 v68, v68
	s_clause 0x7
	global_store_b16 v[8:9], v62, off
	global_store_b16 v[14:15], v63, off
	;; [unrolled: 1-line block ×8, first 2 shown]
	v_exp_f32_e32 v13, v55
	s_waitcnt vmcnt(12)
	v_cvt_f32_f16_e32 v8, v61
	v_ashrrev_i32_e32 v83, 31, v82
	v_dual_cndmask_b32 v27, v73, v54 :: v_dual_add_nc_u32 v12, 0x398f4, v1
	v_add_co_u32 v64, vcc_lo, s10, v32
	s_delay_alu instid0(VALU_DEP_4) | instskip(NEXT) | instid1(VALU_DEP_4)
	v_mul_f32_e32 v14, 0x3fb8aa3b, v8
	v_lshlrev_b64 v[8:9], 1, v[82:83]
	v_add_co_ci_u32_e32 v65, vcc_lo, s11, v33, vcc_lo
	s_delay_alu instid0(TRANS32_DEP_1) | instskip(SKIP_2) | instid1(VALU_DEP_4)
	v_cvt_f16_f32_e32 v32, v13
	v_ashrrev_i32_e32 v13, 31, v12
	v_exp_f32_e32 v33, v14
	v_add_co_u32 v14, vcc_lo, s16, v8
	v_add_co_ci_u32_e32 v15, vcc_lo, s17, v9, vcc_lo
	s_delay_alu instid0(VALU_DEP_3)
	v_lshlrev_b64 v[12:13], 1, v[12:13]
	v_cvt_f32_f16_e32 v55, v32
	v_fma_mix_f32 v32, -v59, v32, v58 op_sel_hi:[1,1,1]
	global_load_u16 v54, v[14:15], off
	v_add_nc_u32_e32 v61, 0x3bb10, v1
	v_cvt_f16_f32_e32 v62, v33
	s_waitcnt vmcnt(12)
	v_cvt_f32_f16_e32 v33, v57
	v_add_co_u32 v14, vcc_lo, s16, v12
	v_add_co_ci_u32_e32 v15, vcc_lo, s17, v13, vcc_lo
	s_delay_alu instid0(VALU_DEP_3)
	v_mul_f32_e32 v57, 0x3fb8aa3b, v33
	v_mul_f32_e64 v55, v60, -v55
	v_cmp_eq_u32_e32 vcc_lo, 12, v0
	v_fma_mix_f32 v63, -v59, v62, v58 op_sel_hi:[1,1,1]
	global_load_u16 v33, v[14:15], off
	v_exp_f32_e32 v57, v57
	s_waitcnt vmcnt(10)
	v_cvt_f32_f16_e32 v73, v96
	v_cndmask_b32_e32 v32, v55, v32, vcc_lo
	v_cvt_f32_f16_e32 v55, v62
	v_ashrrev_i32_e32 v62, 31, v61
	v_add_co_u32 v66, vcc_lo, s10, v18
	v_add_co_ci_u32_e32 v67, vcc_lo, s11, v19, vcc_lo
	s_delay_alu instid0(VALU_DEP_3)
	v_lshlrev_b64 v[14:15], 1, v[61:62]
	v_mul_f32_e64 v55, v60, -v55
	v_cmp_eq_u32_e32 vcc_lo, 13, v0
	v_cvt_f16_f32_e32 v74, v32
	v_cvt_f16_f32_e32 v32, v57
	s_waitcnt vmcnt(7)
	v_cvt_f32_f16_e32 v38, v38
	v_dual_mul_f32 v78, 0x3fb8aa3b, v73 :: v_dual_cndmask_b32 v61, v55, v63
	v_add_co_u32 v18, vcc_lo, s16, v14
	v_cvt_f32_f16_e32 v55, v56
	v_cvt_f32_f16_e32 v56, v32
	v_add_co_ci_u32_e32 v19, vcc_lo, s17, v15, vcc_lo
	v_add_co_u32 v68, vcc_lo, s10, v24
	v_add_co_ci_u32_e32 v69, vcc_lo, s11, v25, vcc_lo
	v_fma_mix_f32 v62, -v59, v32, v58 op_sel_hi:[1,1,1]
	v_mul_f32_e64 v63, v60, -v56
	v_cmp_eq_u32_e32 vcc_lo, 14, v0
	v_cvt_f16_f32_e32 v75, v61
	global_load_u16 v32, v[18:19], off
	v_add_nc_u32_e32 v24, 0x3ff48, v1
	v_cvt_f16_f32_e32 v27, v27
	v_cndmask_b32_e32 v61, v63, v62, vcc_lo
	v_cvt_f32_f16_e32 v62, v95
	v_mul_f32_e32 v57, 0x3fb8aa3b, v55
	v_add_nc_u32_e32 v55, 0x3dd2c, v1
	v_ashrrev_i32_e32 v25, 31, v24
	v_cvt_f16_f32_e32 v76, v61
	v_mul_f32_e32 v72, 0x3fb8aa3b, v62
	v_exp_f32_e32 v57, v57
	v_ashrrev_i32_e32 v56, 31, v55
	v_cvt_f32_f16_e32 v34, v34
	s_waitcnt vmcnt(4)
	v_cvt_f32_f16_e32 v31, v31
	v_cvt_f32_f16_e32 v46, v46
	;; [unrolled: 1-line block ×3, first 2 shown]
	v_lshlrev_b64 v[18:19], 1, v[55:56]
	s_delay_alu instid0(VALU_DEP_4) | instskip(NEXT) | instid1(TRANS32_DEP_1)
	v_mul_f32_e32 v31, 0x3fb8aa3b, v31
	v_cvt_f16_f32_e32 v57, v57
	s_delay_alu instid0(VALU_DEP_3) | instskip(NEXT) | instid1(VALU_DEP_4)
	v_add_co_u32 v55, vcc_lo, s16, v18
	v_add_co_ci_u32_e32 v56, vcc_lo, s17, v19, vcc_lo
	v_add_co_u32 v70, vcc_lo, s10, v20
	v_add_co_ci_u32_e32 v71, vcc_lo, s11, v21, vcc_lo
	v_lshlrev_b64 v[20:21], 1, v[24:25]
	v_cvt_f32_f16_e32 v25, v57
	v_add_nc_u32_e32 v24, 0x42164, v1
	global_load_u16 v61, v[55:56], off
	v_fma_mix_f32 v57, -v59, v57, v58 op_sel_hi:[1,1,1]
	v_exp_f32_e32 v31, v31
	v_add_co_u32 v55, vcc_lo, s16, v20
	v_mul_f32_e64 v63, v60, -v25
	v_ashrrev_i32_e32 v25, 31, v24
	v_add_co_ci_u32_e32 v56, vcc_lo, s17, v21, vcc_lo
	v_cmp_eq_u32_e32 vcc_lo, 15, v0
	s_delay_alu instid0(VALU_DEP_3)
	v_lshlrev_b64 v[24:25], 1, v[24:25]
	global_load_u16 v62, v[55:56], off
	v_cndmask_b32_e32 v57, v63, v57, vcc_lo
	v_exp_f32_e32 v63, v72
	v_add_co_u32 v22, vcc_lo, s10, v22
	v_add_co_ci_u32_e32 v23, vcc_lo, s11, v23, vcc_lo
	v_add_nc_u32_e32 v72, 0x44380, v1
	v_add_co_u32 v55, vcc_lo, s16, v24
	v_add_co_ci_u32_e32 v56, vcc_lo, s17, v25, vcc_lo
	s_delay_alu instid0(VALU_DEP_3) | instskip(SKIP_1) | instid1(TRANS32_DEP_1)
	v_ashrrev_i32_e32 v73, 31, v72
	v_cvt_f16_f32_e32 v57, v57
	v_cvt_f16_f32_e32 v77, v63
	global_load_u16 v63, v[55:56], off
	s_clause 0x7
	global_store_b16 v[85:86], v35, off
	global_store_b16 v[50:51], v39, off
	;; [unrolled: 1-line block ×8, first 2 shown]
	v_cvt_f32_f16_e32 v52, v26
	v_add_nc_u32_e32 v26, 0x4659c, v1
	v_lshlrev_b64 v[22:23], 1, v[72:73]
	v_cvt_f32_f16_e32 v35, v77
	v_fma_mix_f32 v47, -v59, v77, v58 op_sel_hi:[1,1,1]
	v_exp_f32_e32 v39, v78
	v_ashrrev_i32_e32 v27, 31, v26
	v_mul_f32_e32 v52, 0x3fb8aa3b, v52
	v_add_co_u32 v50, vcc_lo, s16, v22
	v_add_co_ci_u32_e32 v51, vcc_lo, s17, v23, vcc_lo
	s_delay_alu instid0(VALU_DEP_4)
	v_lshlrev_b64 v[26:27], 1, v[26:27]
	v_mul_f32_e64 v35, v60, -v35
	v_cmp_eq_u32_e32 vcc_lo, 16, v0
	global_load_u16 v65, v[50:51], off
	v_cvt_f16_f32_e32 v39, v39
	v_exp_f32_e32 v52, v52
	s_waitcnt vmcnt(7)
	v_cvt_f32_f16_e32 v86, v30
	v_cndmask_b32_e32 v35, v35, v47, vcc_lo
	v_add_co_u32 v50, vcc_lo, s16, v26
	v_add_co_ci_u32_e32 v51, vcc_lo, s17, v27, vcc_lo
	v_cvt_f32_f16_e32 v47, v39
	v_add_co_u32 v55, vcc_lo, s10, v36
	global_load_u16 v64, v[50:51], off
	v_add_co_ci_u32_e32 v56, vcc_lo, s11, v37, vcc_lo
	v_fma_mix_f32 v36, -v59, v39, v58 op_sel_hi:[1,1,1]
	v_mul_f32_e64 v37, v60, -v47
	v_cvt_f16_f32_e32 v57, v35
	v_add_nc_u32_e32 v35, 0x487b8, v1
	v_cmp_eq_u32_e32 vcc_lo, 17, v0
	v_cvt_f16_f32_e32 v39, v52
	v_mul_f32_e32 v50, 0x3fb8aa3b, v34
	v_add_nc_u32_e32 v30, 0x59898, v1
	v_dual_mul_f32 v86, 0x3fb8aa3b, v86 :: v_dual_cndmask_b32 v37, v37, v36
	v_ashrrev_i32_e32 v36, 31, v35
	v_add_co_u32 v48, vcc_lo, s10, v48
	v_cvt_f32_f16_e32 v47, v39
	v_add_co_ci_u32_e32 v49, vcc_lo, s11, v49, vcc_lo
	s_delay_alu instid0(VALU_DEP_4)
	v_lshlrev_b64 v[34:35], 1, v[35:36]
	v_exp_f32_e32 v52, v50
	v_add_nc_u32_e32 v50, 0x4a9d4, v1
	v_cvt_f16_f32_e32 v80, v37
	v_fma_mix_f32 v39, -v59, v39, v58 op_sel_hi:[1,1,1]
	v_mul_f32_e64 v47, v60, -v47
	v_add_co_u32 v36, vcc_lo, s16, v34
	v_add_co_ci_u32_e32 v37, vcc_lo, s17, v35, vcc_lo
	v_cmp_eq_u32_e32 vcc_lo, 18, v0
	v_ashrrev_i32_e32 v51, 31, v50
	s_delay_alu instid0(TRANS32_DEP_1)
	v_cvt_f16_f32_e32 v52, v52
	global_load_u16 v66, v[36:37], off
	v_mul_f32_e32 v37, 0x3fb8aa3b, v38
	v_dual_cndmask_b32 v47, v47, v39 :: v_dual_add_nc_u32 v36, 0x4cbf0, v1
	v_lshlrev_b64 v[38:39], 1, v[50:51]
	v_add_co_u32 v72, vcc_lo, s10, v42
	s_delay_alu instid0(VALU_DEP_3) | instskip(SKIP_4) | instid1(VALU_DEP_3)
	v_cvt_f16_f32_e32 v81, v47
	v_exp_f32_e32 v47, v37
	v_ashrrev_i32_e32 v37, 31, v36
	v_add_co_ci_u32_e32 v73, vcc_lo, s11, v43, vcc_lo
	v_add_co_u32 v42, vcc_lo, s16, v38
	v_lshlrev_b64 v[36:37], 1, v[36:37]
	v_add_co_ci_u32_e32 v43, vcc_lo, s17, v39, vcc_lo
	v_cvt_f32_f16_e32 v50, v52
	v_fma_mix_f32 v51, -v59, v52, v58 op_sel_hi:[1,1,1]
	s_delay_alu instid0(TRANS32_DEP_1)
	v_cvt_f16_f32_e32 v47, v47
	global_load_u16 v67, v[42:43], off
	v_add_co_u32 v42, vcc_lo, s16, v36
	v_add_co_ci_u32_e32 v43, vcc_lo, s17, v37, vcc_lo
	v_mul_f32_e64 v52, v60, -v50
	v_add_nc_u32_e32 v50, 0x4ee0c, v1
	v_cmp_eq_u32_e32 vcc_lo, 19, v0
	global_load_u16 v68, v[42:43], off
	v_mul_f32_e32 v42, 0x3fb8aa3b, v46
	v_cvt_f32_f16_e32 v53, v47
	v_fma_mix_f32 v43, -v59, v47, v58 op_sel_hi:[1,1,1]
	v_cndmask_b32_e32 v52, v52, v51, vcc_lo
	v_ashrrev_i32_e32 v51, 31, v50
	v_add_co_u32 v74, vcc_lo, s10, v40
	v_exp_f32_e32 v47, v42
	v_add_co_ci_u32_e32 v75, vcc_lo, s11, v41, vcc_lo
	v_mul_f32_e64 v46, v60, -v53
	v_lshlrev_b64 v[40:41], 1, v[50:51]
	v_cmp_eq_u32_e32 vcc_lo, 20, v0
	v_cvt_f16_f32_e32 v82, v52
	s_delay_alu instid0(VALU_DEP_4) | instskip(SKIP_4) | instid1(VALU_DEP_4)
	v_cndmask_b32_e32 v50, v46, v43, vcc_lo
	v_add_nc_u32_e32 v46, 0x51028, v1
	v_add_co_u32 v42, vcc_lo, s16, v40
	v_add_co_ci_u32_e32 v43, vcc_lo, s17, v41, vcc_lo
	v_cvt_f16_f32_e32 v51, v47
	v_ashrrev_i32_e32 v47, 31, v46
	v_cvt_f16_f32_e32 v83, v50
	global_load_u16 v69, v[42:43], off
	v_add_nc_u32_e32 v42, 0x53244, v1
	v_cvt_f32_f16_e32 v43, v51
	v_fma_mix_f32 v52, -v59, v51, v58 op_sel_hi:[1,1,1]
	v_mul_f32_e32 v50, 0x3fb8aa3b, v45
	v_cvt_f32_f16_e32 v51, v44
	v_lshlrev_b64 v[44:45], 1, v[46:47]
	v_add_co_u32 v28, vcc_lo, s10, v28
	v_mul_f32_e64 v53, v60, -v43
	v_ashrrev_i32_e32 v43, 31, v42
	v_add_co_ci_u32_e32 v29, vcc_lo, s11, v29, vcc_lo
	v_exp_f32_e32 v70, v50
	v_add_co_u32 v50, vcc_lo, s16, v44
	v_mul_f32_e32 v76, 0x3fb8aa3b, v51
	v_add_co_ci_u32_e32 v51, vcc_lo, s17, v45, vcc_lo
	v_lshlrev_b64 v[46:47], 1, v[42:43]
	v_cmp_eq_u32_e32 vcc_lo, 21, v0
	global_load_u16 v71, v[50:51], off
	v_cndmask_b32_e32 v52, v53, v52, vcc_lo
	v_add_co_u32 v42, vcc_lo, s16, v46
	v_add_co_ci_u32_e32 v43, vcc_lo, s17, v47, vcc_lo
	v_cvt_f16_f32_e32 v53, v70
	v_exp_f32_e32 v70, v76
	v_add_co_u32 v76, vcc_lo, s10, v16
	global_load_u16 v16, v[42:43], off
	v_add_nc_u32_e32 v50, 0x55460, v1
	v_add_co_ci_u32_e32 v77, vcc_lo, s11, v17, vcc_lo
	v_cvt_f16_f32_e32 v17, v52
	v_cvt_f32_f16_e32 v52, v53
	s_delay_alu instid0(VALU_DEP_4) | instskip(SKIP_2) | instid1(VALU_DEP_4)
	v_ashrrev_i32_e32 v51, 31, v50
	v_cvt_f16_f32_e32 v70, v70
	v_fma_mix_f32 v53, -v59, v53, v58 op_sel_hi:[1,1,1]
	v_mul_f32_e64 v52, v60, -v52
	s_delay_alu instid0(VALU_DEP_4) | instskip(NEXT) | instid1(VALU_DEP_4)
	v_lshlrev_b64 v[42:43], 1, v[50:51]
	v_cvt_f32_f16_e32 v78, v70
	s_delay_alu instid0(VALU_DEP_2) | instskip(NEXT) | instid1(VALU_DEP_3)
	v_add_co_u32 v50, vcc_lo, s16, v42
	v_add_co_ci_u32_e32 v51, vcc_lo, s17, v43, vcc_lo
	v_cmp_eq_u32_e32 vcc_lo, 22, v0
	s_delay_alu instid0(VALU_DEP_4)
	v_mul_f32_e64 v78, v60, -v78
	s_waitcnt vmcnt(12)
	v_cvt_f32_f16_e32 v33, v33
	s_waitcnt vmcnt(6)
	v_cvt_f32_f16_e32 v64, v64
	v_cndmask_b32_e32 v52, v52, v53, vcc_lo
	v_fma_mix_f32 v53, -v59, v70, v58 op_sel_hi:[1,1,1]
	global_load_u16 v70, v[50:51], off
	v_add_nc_u32_e32 v50, 0x5767c, v1
	v_add_co_u32 v10, vcc_lo, s10, v10
	v_add_co_ci_u32_e32 v11, vcc_lo, s11, v11, vcc_lo
	v_cmp_eq_u32_e32 vcc_lo, 23, v0
	s_delay_alu instid0(VALU_DEP_4) | instskip(SKIP_3) | instid1(VALU_DEP_4)
	v_ashrrev_i32_e32 v51, 31, v50
	v_cvt_f16_f32_e32 v84, v52
	v_cndmask_b32_e32 v52, v78, v53, vcc_lo
	v_cvt_f16_f32_e32 v53, v31
	v_lshlrev_b64 v[50:51], 1, v[50:51]
	v_add_co_u32 v78, vcc_lo, s10, v6
	v_add_co_ci_u32_e32 v79, vcc_lo, s11, v7, vcc_lo
	v_cvt_f16_f32_e32 v85, v52
	v_cvt_f32_f16_e32 v52, v53
	v_ashrrev_i32_e32 v31, 31, v30
	v_add_co_u32 v6, vcc_lo, s16, v50
	v_add_co_ci_u32_e32 v7, vcc_lo, s17, v51, vcc_lo
	v_fma_mix_f32 v87, -v59, v53, v58 op_sel_hi:[1,1,1]
	v_mul_f32_e64 v88, v60, -v52
	v_lshlrev_b64 v[52:53], 1, v[30:31]
	v_cmp_eq_u32_e32 vcc_lo, 24, v0
	global_load_u16 v6, v[6:7], off
	v_exp_f32_e32 v7, v86
	s_clause 0x7
	global_store_b16 v[55:56], v57, off
	global_store_b16 v[48:49], v80, off
	;; [unrolled: 1-line block ×8, first 2 shown]
	v_dual_cndmask_b32 v17, v88, v87 :: v_dual_add_nc_u32 v28, 0x5bab4, v1
	v_add_co_u32 v10, vcc_lo, s16, v52
	v_add_co_ci_u32_e32 v11, vcc_lo, s17, v53, vcc_lo
	s_delay_alu instid0(VALU_DEP_3)
	v_ashrrev_i32_e32 v29, 31, v28
	v_add_co_u32 v30, vcc_lo, s10, v4
	v_cvt_f16_f32_e32 v48, v7
	global_load_u16 v7, v[10:11], off
	v_cvt_f32_f16_e32 v10, v54
	v_add_co_ci_u32_e32 v31, vcc_lo, s11, v5, vcc_lo
	v_lshlrev_b64 v[4:5], 1, v[28:29]
	v_cvt_f16_f32_e32 v78, v17
	v_cvt_f32_f16_e32 v11, v48
	v_fma_mix_f32 v17, -v59, v48, v58 op_sel_hi:[1,1,1]
	v_mul_f32_e32 v48, 0x3fb8aa3b, v10
	v_add_nc_u32_e32 v10, 0x5dcd0, v1
	v_add_co_u32 v28, vcc_lo, s16, v4
	v_mul_f32_e64 v49, v60, -v11
	v_add_co_ci_u32_e32 v29, vcc_lo, s17, v5, vcc_lo
	s_delay_alu instid0(VALU_DEP_4)
	v_ashrrev_i32_e32 v11, 31, v10
	v_cmp_eq_u32_e32 vcc_lo, 25, v0
	v_exp_f32_e32 v48, v48
	global_load_u16 v72, v[28:29], off
	v_lshlrev_b64 v[54:55], 1, v[10:11]
	v_cndmask_b32_e32 v17, v49, v17, vcc_lo
	v_add_co_u32 v10, vcc_lo, s10, v2
	v_add_co_ci_u32_e32 v11, vcc_lo, s11, v3, vcc_lo
	s_delay_alu instid0(VALU_DEP_4)
	v_add_co_u32 v2, vcc_lo, s16, v54
	v_add_co_ci_u32_e32 v3, vcc_lo, s17, v55, vcc_lo
	v_cvt_f16_f32_e32 v48, v48
	v_cvt_f16_f32_e32 v79, v17
	global_load_u16 v2, v[2:3], off
	v_mul_f32_e32 v28, 0x3fb8aa3b, v33
	v_cvt_f32_f16_e32 v3, v32
	v_cvt_f32_f16_e32 v17, v48
	v_fma_mix_f32 v32, -v59, v48, v58 op_sel_hi:[1,1,1]
	s_delay_alu instid0(VALU_DEP_4) | instskip(SKIP_3) | instid1(VALU_DEP_3)
	v_exp_f32_e32 v33, v28
	v_add_nc_u32_e32 v28, 0x5feec, v1
	v_mul_f32_e32 v3, 0x3fb8aa3b, v3
	v_mul_f32_e64 v17, v60, -v17
	v_ashrrev_i32_e32 v29, 31, v28
	s_delay_alu instid0(VALU_DEP_3) | instskip(SKIP_3) | instid1(VALU_DEP_2)
	v_exp_f32_e32 v3, v3
	s_waitcnt_depctr 0xfff
	v_cvt_f16_f32_e32 v33, v33
	v_lshlrev_b64 v[56:57], 1, v[28:29]
	v_cvt_f32_f16_e32 v48, v33
	s_delay_alu instid0(VALU_DEP_2) | instskip(NEXT) | instid1(VALU_DEP_3)
	v_add_co_u32 v28, vcc_lo, s16, v56
	v_add_co_ci_u32_e32 v29, vcc_lo, s17, v57, vcc_lo
	v_cmp_eq_u32_e32 vcc_lo, 26, v0
	v_cvt_f16_f32_e32 v3, v3
	global_load_u16 v73, v[28:29], off
	v_mul_f32_e64 v28, v60, -v48
	v_cndmask_b32_e32 v17, v17, v32, vcc_lo
	v_add_co_u32 v74, vcc_lo, s10, v8
	v_add_co_ci_u32_e32 v75, vcc_lo, s11, v9, vcc_lo
	v_fma_mix_f32 v32, -v59, v33, v58 op_sel_hi:[1,1,1]
	v_cmp_eq_u32_e32 vcc_lo, 27, v0
	v_add_nc_u32_e32 v8, 0x62108, v1
	v_cvt_f16_f32_e32 v80, v17
	v_cvt_f32_f16_e32 v29, v63
	v_cndmask_b32_e32 v17, v28, v32, vcc_lo
	v_cvt_f32_f16_e32 v28, v61
	v_ashrrev_i32_e32 v9, 31, v8
	v_add_co_u32 v76, vcc_lo, s10, v12
	v_add_co_ci_u32_e32 v77, vcc_lo, s11, v13, vcc_lo
	v_cvt_f32_f16_e32 v12, v3
	v_mul_f32_e32 v13, 0x3fb8aa3b, v28
	v_lshlrev_b64 v[48:49], 1, v[8:9]
	v_cvt_f16_f32_e32 v81, v17
	v_fma_mix_f32 v3, -v59, v3, v58 op_sel_hi:[1,1,1]
	v_mul_f32_e64 v17, v60, -v12
	v_exp_f32_e32 v13, v13
	v_cvt_f32_f16_e32 v12, v62
	v_add_co_u32 v8, vcc_lo, s16, v48
	v_add_co_ci_u32_e32 v9, vcc_lo, s17, v49, vcc_lo
	s_delay_alu instid0(VALU_DEP_3)
	v_mul_f32_e32 v28, 0x3fb8aa3b, v12
	v_add_nc_u32_e32 v12, 0x64324, v1
	v_cmp_eq_u32_e32 vcc_lo, 28, v0
	global_load_u16 v8, v[8:9], off
	v_cvt_f16_f32_e32 v9, v13
	s_waitcnt vmcnt(7)
	v_cvt_f32_f16_e32 v16, v16
	v_ashrrev_i32_e32 v13, 31, v12
	v_cndmask_b32_e32 v3, v17, v3, vcc_lo
	v_exp_f32_e32 v17, v28
	v_add_co_u32 v14, vcc_lo, s10, v14
	s_delay_alu instid0(VALU_DEP_3)
	v_lshlrev_b64 v[32:33], 1, v[12:13]
	v_cvt_f32_f16_e32 v28, v9
	v_add_co_ci_u32_e32 v15, vcc_lo, s11, v15, vcc_lo
	v_fma_mix_f32 v9, -v59, v9, v58 op_sel_hi:[1,1,1]
	v_cvt_f16_f32_e32 v3, v3
	v_add_co_u32 v12, vcc_lo, s16, v32
	v_add_co_ci_u32_e32 v13, vcc_lo, s17, v33, vcc_lo
	v_mul_f32_e64 v28, v60, -v28
	v_cvt_f16_f32_e32 v61, v17
	v_mul_f32_e32 v17, 0x3fb8aa3b, v29
	v_cmp_eq_u32_e32 vcc_lo, 29, v0
	global_load_u16 v12, v[12:13], off
	v_fma_mix_f32 v13, -v59, v61, v58 op_sel_hi:[1,1,1]
	v_exp_f32_e32 v29, v17
	v_cndmask_b32_e32 v9, v28, v9, vcc_lo
	v_cvt_f32_f16_e32 v28, v61
	v_add_co_u32 v17, vcc_lo, s10, v18
	v_add_co_ci_u32_e32 v18, vcc_lo, s11, v19, vcc_lo
	s_delay_alu instid0(VALU_DEP_3) | instskip(SKIP_3) | instid1(TRANS32_DEP_1)
	v_mul_f32_e64 v19, v60, -v28
	v_add_nc_u32_e32 v28, 0x66540, v1
	v_cvt_f16_f32_e32 v63, v9
	v_cvt_f32_f16_e32 v9, v65
	v_cvt_f16_f32_e32 v61, v29
	v_cmp_eq_u32_e32 vcc_lo, 30, v0
	v_ashrrev_i32_e32 v29, 31, v28
	s_delay_alu instid0(VALU_DEP_4) | instskip(NEXT) | instid1(VALU_DEP_4)
	v_mul_f32_e32 v9, 0x3fb8aa3b, v9
	v_fma_mix_f32 v65, -v59, v61, v58 op_sel_hi:[1,1,1]
	v_cndmask_b32_e32 v13, v19, v13, vcc_lo
	s_delay_alu instid0(VALU_DEP_4) | instskip(SKIP_4) | instid1(VALU_DEP_4)
	v_lshlrev_b64 v[28:29], 1, v[28:29]
	v_add_co_u32 v19, vcc_lo, s10, v20
	v_add_co_ci_u32_e32 v20, vcc_lo, s11, v21, vcc_lo
	v_cvt_f32_f16_e32 v21, v61
	v_exp_f32_e32 v9, v9
	v_add_co_u32 v61, vcc_lo, s16, v28
	v_add_co_ci_u32_e32 v62, vcc_lo, s17, v29, vcc_lo
	s_delay_alu instid0(VALU_DEP_3) | instskip(SKIP_2) | instid1(VALU_DEP_3)
	v_mul_f32_e64 v21, v60, -v21
	v_cmp_eq_u32_e32 vcc_lo, 31, v0
	v_cvt_f16_f32_e32 v13, v13
	v_cndmask_b32_e32 v21, v21, v65, vcc_lo
	s_delay_alu instid0(TRANS32_DEP_1)
	v_cvt_f16_f32_e32 v65, v9
	v_mul_f32_e32 v9, 0x3fb8aa3b, v64
	global_load_u16 v64, v[61:62], off
	v_add_co_u32 v24, vcc_lo, s10, v24
	v_add_co_ci_u32_e32 v25, vcc_lo, s11, v25, vcc_lo
	v_exp_f32_e32 v62, v9
	v_add_nc_u32_e32 v9, 0x6875c, v1
	v_cvt_f16_f32_e32 v21, v21
	s_clause 0x7
	global_store_b16 v[30:31], v78, off
	global_store_b16 v[10:11], v79, off
	;; [unrolled: 1-line block ×8, first 2 shown]
	v_cvt_f32_f16_e32 v61, v65
	v_fma_mix_f32 v11, -v59, v65, v58 op_sel_hi:[1,1,1]
	v_ashrrev_i32_e32 v10, 31, v9
	v_cmp_eq_u32_e32 vcc_lo, 32, v0
	v_cvt_f32_f16_e32 v3, v66
	v_mul_f32_e64 v13, v60, -v61
	v_cvt_f16_f32_e32 v15, v62
	v_lshlrev_b64 v[30:31], 1, v[9:10]
	v_cvt_f32_f16_e32 v18, v68
	v_mul_f32_e32 v3, 0x3fb8aa3b, v3
	v_cndmask_b32_e32 v11, v13, v11, vcc_lo
	v_cvt_f32_f16_e32 v17, v15
	v_fma_mix_f32 v15, -v59, v15, v58 op_sel_hi:[1,1,1]
	v_add_co_u32 v9, vcc_lo, s16, v30
	v_add_co_ci_u32_e32 v10, vcc_lo, s17, v31, vcc_lo
	v_exp_f32_e32 v3, v3
	v_add_co_u32 v13, vcc_lo, s10, v22
	global_load_u16 v62, v[9:10], off
	v_cvt_f32_f16_e32 v9, v67
	v_add_co_ci_u32_e32 v14, vcc_lo, s11, v23, vcc_lo
	v_mul_f32_e64 v17, v60, -v17
	v_cmp_eq_u32_e32 vcc_lo, 33, v0
	s_delay_alu instid0(VALU_DEP_4)
	v_mul_f32_e32 v10, 0x3fb8aa3b, v9
	v_add_nc_u32_e32 v9, 0x6a978, v1
	v_cvt_f16_f32_e32 v3, v3
	v_cvt_f16_f32_e32 v66, v11
	v_cndmask_b32_e32 v11, v17, v15, vcc_lo
	v_exp_f32_e32 v17, v10
	v_ashrrev_i32_e32 v10, 31, v9
	v_cvt_f32_f16_e32 v15, v3
	v_add_co_u32 v20, vcc_lo, s10, v26
	v_add_co_ci_u32_e32 v21, vcc_lo, s11, v27, vcc_lo
	s_delay_alu instid0(VALU_DEP_4)
	v_lshlrev_b64 v[22:23], 1, v[9:10]
	v_fma_mix_f32 v3, -v59, v3, v58 op_sel_hi:[1,1,1]
	v_mul_f32_e64 v15, v60, -v15
	v_cmp_eq_u32_e32 vcc_lo, 34, v0
	v_cvt_f16_f32_e32 v67, v11
	v_mul_f32_e32 v11, 0x3fb8aa3b, v18
	s_delay_alu instid0(VALU_DEP_4) | instskip(SKIP_2) | instid1(VALU_DEP_4)
	v_cndmask_b32_e32 v3, v15, v3, vcc_lo
	v_add_co_u32 v9, vcc_lo, s16, v22
	v_cvt_f16_f32_e32 v15, v17
	v_exp_f32_e32 v11, v11
	v_add_co_ci_u32_e32 v10, vcc_lo, s17, v23, vcc_lo
	v_add_co_u32 v24, vcc_lo, s10, v34
	s_delay_alu instid0(VALU_DEP_3)
	v_cvt_f32_f16_e32 v17, v15
	global_load_u16 v65, v[9:10], off
	v_cvt_f32_f16_e32 v10, v69
	v_add_co_ci_u32_e32 v25, vcc_lo, s11, v35, vcc_lo
	v_cvt_f16_f32_e32 v9, v11
	v_fma_mix_f32 v11, -v59, v15, v58 op_sel_hi:[1,1,1]
	v_mul_f32_e64 v15, v60, -v17
	v_mul_f32_e32 v10, 0x3fb8aa3b, v10
	v_cmp_eq_u32_e32 vcc_lo, 35, v0
	v_cvt_f32_f16_e32 v17, v9
	v_cvt_f16_f32_e32 v3, v3
	s_delay_alu instid0(VALU_DEP_4)
	v_exp_f32_e32 v18, v10
	v_cndmask_b32_e32 v11, v15, v11, vcc_lo
	v_fma_mix_f32 v15, -v59, v9, v58 op_sel_hi:[1,1,1]
	v_add_nc_u32_e32 v9, 0x6cb94, v1
	v_add_co_u32 v26, vcc_lo, s10, v38
	v_add_co_ci_u32_e32 v27, vcc_lo, s11, v39, vcc_lo
	v_mul_f32_e64 v17, v60, -v17
	s_delay_alu instid0(VALU_DEP_4) | instskip(SKIP_2) | instid1(VALU_DEP_4)
	v_ashrrev_i32_e32 v10, 31, v9
	v_cmp_eq_u32_e32 vcc_lo, 36, v0
	v_cvt_f16_f32_e32 v68, v11
	v_cndmask_b32_e32 v11, v17, v15, vcc_lo
	v_cvt_f16_f32_e32 v15, v18
	v_lshlrev_b64 v[18:19], 1, v[9:10]
	v_cvt_f32_f16_e32 v17, v71
	v_add_co_u32 v34, vcc_lo, s10, v36
	v_add_co_ci_u32_e32 v35, vcc_lo, s11, v37, vcc_lo
	s_delay_alu instid0(VALU_DEP_4) | instskip(SKIP_4) | instid1(VALU_DEP_4)
	v_add_co_u32 v9, vcc_lo, s16, v18
	v_cvt_f32_f16_e32 v36, v15
	v_mul_f32_e32 v17, 0x3fb8aa3b, v17
	v_add_co_ci_u32_e32 v10, vcc_lo, s17, v19, vcc_lo
	v_fma_mix_f32 v15, -v59, v15, v58 op_sel_hi:[1,1,1]
	v_mul_f32_e64 v36, v60, -v36
	v_cmp_eq_u32_e32 vcc_lo, 37, v0
	global_load_u16 v63, v[9:10], off
	v_mul_f32_e32 v10, 0x3fb8aa3b, v16
	v_exp_f32_e32 v17, v17
	v_add_nc_u32_e32 v9, 0x6edb0, v1
	v_cvt_f16_f32_e32 v69, v11
	v_cndmask_b32_e32 v11, v36, v15, vcc_lo
	v_exp_f32_e32 v15, v10
	v_add_co_u32 v36, vcc_lo, s10, v40
	v_ashrrev_i32_e32 v10, 31, v9
	v_add_co_ci_u32_e32 v37, vcc_lo, s11, v41, vcc_lo
	s_delay_alu instid0(TRANS32_DEP_2) | instskip(SKIP_4) | instid1(TRANS32_DEP_1)
	v_cvt_f16_f32_e32 v38, v17
	s_waitcnt vmcnt(11)
	v_cvt_f32_f16_e32 v39, v70
	v_lshlrev_b64 v[16:17], 1, v[9:10]
	v_cvt_f16_f32_e32 v71, v11
	v_cvt_f16_f32_e32 v15, v15
	v_cvt_f32_f16_e32 v11, v38
	v_mul_f32_e32 v39, 0x3fb8aa3b, v39
	v_fma_mix_f32 v38, -v59, v38, v58 op_sel_hi:[1,1,1]
	v_add_co_u32 v9, vcc_lo, s16, v16
	v_add_co_ci_u32_e32 v10, vcc_lo, s17, v17, vcc_lo
	v_mul_f32_e64 v11, v60, -v11
	v_cmp_eq_u32_e32 vcc_lo, 38, v0
	v_cvt_f32_f16_e32 v40, v15
	global_load_u16 v61, v[9:10], off
	v_add_nc_u32_e32 v9, 0x70fcc, v1
	v_exp_f32_e32 v70, v39
	v_cndmask_b32_e32 v11, v11, v38, vcc_lo
	v_add_co_u32 v38, vcc_lo, s10, v44
	s_delay_alu instid0(VALU_DEP_3)
	v_ashrrev_i32_e32 v10, 31, v9
	v_add_co_ci_u32_e32 v39, vcc_lo, s11, v45, vcc_lo
	v_fma_mix_f32 v15, -v59, v15, v58 op_sel_hi:[1,1,1]
	v_mul_f32_e64 v40, v60, -v40
	v_cmp_eq_u32_e32 vcc_lo, 39, v0
	v_cvt_f16_f32_e32 v74, v11
	v_lshlrev_b64 v[10:11], 1, v[9:10]
	v_cvt_f16_f32_e32 v9, v70
	s_waitcnt vmcnt(11)
	v_cvt_f32_f16_e32 v6, v6
	v_cndmask_b32_e32 v15, v40, v15, vcc_lo
	v_add_co_u32 v40, vcc_lo, s10, v46
	v_add_co_ci_u32_e32 v41, vcc_lo, s11, v47, vcc_lo
	v_add_co_u32 v44, vcc_lo, s16, v10
	v_add_co_ci_u32_e32 v45, vcc_lo, s17, v11, vcc_lo
	v_cvt_f32_f16_e32 v46, v9
	v_fma_mix_f32 v9, -v59, v9, v58 op_sel_hi:[1,1,1]
	v_cmp_eq_u32_e32 vcc_lo, 40, v0
	global_load_u16 v44, v[44:45], off
	v_cvt_f16_f32_e32 v15, v15
	v_mul_f32_e64 v45, v60, -v46
	v_mul_f32_e32 v6, 0x3fb8aa3b, v6
	s_clause 0x7
	global_store_b16 v[13:14], v66, off
	global_store_b16 v[20:21], v67, off
	;; [unrolled: 1-line block ×8, first 2 shown]
	s_waitcnt vmcnt(11)
	v_cvt_f32_f16_e32 v3, v7
	v_add_nc_u32_e32 v70, 0x864e4, v1
	v_cndmask_b32_e32 v9, v45, v9, vcc_lo
	v_exp_f32_e32 v46, v6
	v_add_nc_u32_e32 v6, 0x731e8, v1
	v_add_co_u32 v34, vcc_lo, s10, v42
	v_add_co_ci_u32_e32 v35, vcc_lo, s11, v43, vcc_lo
	s_waitcnt vmcnt(10)
	v_cvt_f32_f16_e32 v20, v72
	v_mul_f32_e32 v3, 0x3fb8aa3b, v3
	v_ashrrev_i32_e32 v7, 31, v6
	v_cvt_f16_f32_e32 v45, v9
	s_delay_alu instid0(TRANS32_DEP_1)
	v_cvt_f16_f32_e32 v13, v46
	v_mul_f32_e32 v20, 0x3fb8aa3b, v20
	v_exp_f32_e32 v3, v3
	v_lshlrev_b64 v[6:7], 1, v[6:7]
	v_ashrrev_i32_e32 v71, 31, v70
	v_cvt_f32_f16_e32 v14, v13
	v_fma_mix_f32 v9, -v59, v13, v58 op_sel_hi:[1,1,1]
	s_delay_alu instid0(VALU_DEP_4) | instskip(NEXT) | instid1(VALU_DEP_3)
	v_add_co_u32 v13, vcc_lo, s16, v6
	v_mul_f32_e64 v15, v60, -v14
	v_add_co_ci_u32_e32 v14, vcc_lo, s17, v7, vcc_lo
	s_delay_alu instid0(TRANS32_DEP_1)
	v_cvt_f16_f32_e32 v3, v3
	v_cmp_eq_u32_e32 vcc_lo, 41, v0
	global_load_u16 v46, v[13:14], off
	v_exp_f32_e32 v14, v20
	v_cvt_f32_f16_e32 v13, v3
	v_fma_mix_f32 v3, -v59, v3, v58 op_sel_hi:[1,1,1]
	s_delay_alu instid0(VALU_DEP_2) | instskip(SKIP_2) | instid1(VALU_DEP_1)
	v_mul_f32_e64 v13, v60, -v13
	s_waitcnt vmcnt(9)
	v_cvt_f32_f16_e32 v21, v73
	v_mul_f32_e32 v21, 0x3fb8aa3b, v21
	s_delay_alu instid0(VALU_DEP_1)
	v_exp_f32_e32 v21, v21
	s_waitcnt_depctr 0xfff
	v_cvt_f16_f32_e32 v24, v21
	s_waitcnt vmcnt(8)
	v_cvt_f32_f16_e32 v8, v8
	v_cndmask_b32_e32 v9, v15, v9, vcc_lo
	v_add_co_u32 v36, vcc_lo, s10, v50
	v_add_co_ci_u32_e32 v37, vcc_lo, s11, v51, vcc_lo
	s_delay_alu instid0(VALU_DEP_3)
	v_cvt_f16_f32_e32 v74, v9
	v_cvt_f32_f16_e32 v9, v2
	v_add_nc_u32_e32 v2, 0x75404, v1
	v_cmp_eq_u32_e32 vcc_lo, 42, v0
	v_cvt_f16_f32_e32 v15, v14
	v_cndmask_b32_e32 v13, v13, v3, vcc_lo
	s_delay_alu instid0(VALU_DEP_4) | instskip(SKIP_2) | instid1(VALU_DEP_3)
	v_ashrrev_i32_e32 v3, 31, v2
	v_add_co_u32 v38, vcc_lo, s10, v52
	v_add_co_ci_u32_e32 v39, vcc_lo, s11, v53, vcc_lo
	v_lshlrev_b64 v[2:3], 1, v[2:3]
	v_cvt_f16_f32_e32 v75, v13
	v_cvt_f32_f16_e32 v20, v15
	v_fma_mix_f32 v15, -v59, v15, v58 op_sel_hi:[1,1,1]
	s_waitcnt vmcnt(7)
	v_cvt_f32_f16_e32 v12, v12
	v_add_co_u32 v13, vcc_lo, s16, v2
	v_add_co_ci_u32_e32 v14, vcc_lo, s17, v3, vcc_lo
	v_mul_f32_e64 v20, v60, -v20
	v_cmp_eq_u32_e32 vcc_lo, 43, v0
	global_load_u16 v53, v[13:14], off
	v_add_nc_u32_e32 v13, 0x77620, v1
	v_cndmask_b32_e32 v15, v20, v15, vcc_lo
	v_add_co_u32 v40, vcc_lo, s10, v4
	s_delay_alu instid0(VALU_DEP_3) | instskip(SKIP_1) | instid1(VALU_DEP_4)
	v_ashrrev_i32_e32 v14, 31, v13
	v_add_co_ci_u32_e32 v41, vcc_lo, s11, v5, vcc_lo
	v_cvt_f16_f32_e32 v76, v15
	s_delay_alu instid0(VALU_DEP_3) | instskip(NEXT) | instid1(VALU_DEP_1)
	v_lshlrev_b64 v[4:5], 1, v[13:14]
	v_add_co_u32 v13, vcc_lo, s16, v4
	s_delay_alu instid0(VALU_DEP_2)
	v_add_co_ci_u32_e32 v14, vcc_lo, s17, v5, vcc_lo
	v_cmp_eq_u32_e32 vcc_lo, 44, v0
	global_load_u16 v52, v[13:14], off
	v_fma_mix_f32 v13, -v59, v24, v58 op_sel_hi:[1,1,1]
	s_waitcnt vmcnt(7)
	v_cvt_f32_f16_e32 v62, v62
	v_mul_f32_e32 v9, 0x3fb8aa3b, v9
	s_delay_alu instid0(VALU_DEP_1) | instskip(SKIP_2) | instid1(VALU_DEP_1)
	v_exp_f32_e32 v9, v9
	s_waitcnt_depctr 0xfff
	v_cvt_f16_f32_e32 v9, v9
	v_cvt_f32_f16_e32 v20, v9
	v_fma_mix_f32 v9, -v59, v9, v58 op_sel_hi:[1,1,1]
	s_delay_alu instid0(VALU_DEP_2) | instskip(SKIP_1) | instid1(VALU_DEP_2)
	v_mul_f32_e64 v15, v60, -v20
	v_add_nc_u32_e32 v20, 0x7983c, v1
	v_cndmask_b32_e32 v15, v15, v9, vcc_lo
	v_cvt_f32_f16_e32 v9, v24
	s_delay_alu instid0(VALU_DEP_3) | instskip(SKIP_2) | instid1(VALU_DEP_4)
	v_ashrrev_i32_e32 v21, 31, v20
	v_add_co_u32 v42, vcc_lo, s10, v54
	v_add_co_ci_u32_e32 v43, vcc_lo, s11, v55, vcc_lo
	v_mul_f32_e64 v14, v60, -v9
	v_mul_f32_e32 v24, 0x3fb8aa3b, v8
	v_lshlrev_b64 v[8:9], 1, v[20:21]
	v_cmp_eq_u32_e32 vcc_lo, 45, v0
	v_cvt_f16_f32_e32 v77, v15
	v_add_nc_u32_e32 v20, 0x7ba58, v1
	v_exp_f32_e32 v21, v24
	v_cndmask_b32_e32 v15, v14, v13, vcc_lo
	v_add_co_u32 v13, vcc_lo, s16, v8
	v_add_co_ci_u32_e32 v14, vcc_lo, s17, v9, vcc_lo
	v_add_co_u32 v66, vcc_lo, s10, v56
	v_add_co_ci_u32_e32 v67, vcc_lo, s11, v57, vcc_lo
	global_load_u16 v50, v[13:14], off
	v_cvt_f16_f32_e32 v24, v21
	v_ashrrev_i32_e32 v21, 31, v20
	v_cvt_f32_f16_e32 v57, v64
	s_delay_alu instid0(VALU_DEP_3) | instskip(SKIP_1) | instid1(VALU_DEP_3)
	v_cvt_f32_f16_e32 v25, v24
	v_fma_mix_f32 v24, -v59, v24, v58 op_sel_hi:[1,1,1]
	v_mul_f32_e32 v57, 0x3fb8aa3b, v57
	s_delay_alu instid0(VALU_DEP_3) | instskip(NEXT) | instid1(VALU_DEP_2)
	v_mul_f32_e64 v25, v60, -v25
	v_exp_f32_e32 v79, v57
	s_waitcnt_depctr 0xfff
	v_cvt_f16_f32_e32 v79, v79
	s_waitcnt vmcnt(5)
	v_cvt_f32_f16_e32 v61, v61
	v_mul_f32_e32 v13, 0x3fb8aa3b, v12
	v_add_nc_u32_e32 v12, 0x7dc74, v1
	s_delay_alu instid0(VALU_DEP_2) | instskip(NEXT) | instid1(VALU_DEP_1)
	v_exp_f32_e32 v26, v13
	v_ashrrev_i32_e32 v13, 31, v12
	s_delay_alu instid0(VALU_DEP_1) | instskip(SKIP_2) | instid1(VALU_DEP_1)
	v_lshlrev_b64 v[12:13], 1, v[12:13]
	s_waitcnt_depctr 0xfff
	v_cvt_f16_f32_e32 v55, v26
	v_cvt_f32_f16_e32 v56, v55
	v_fma_mix_f32 v64, -v59, v55, v58 op_sel_hi:[1,1,1]
	s_delay_alu instid0(VALU_DEP_2) | instskip(SKIP_1) | instid1(VALU_DEP_1)
	v_mul_f32_e64 v68, v60, -v56
	v_add_nc_u32_e32 v56, 0x842c8, v1
	v_ashrrev_i32_e32 v57, 31, v56
	s_waitcnt vmcnt(3)
	v_cvt_f32_f16_e32 v46, v46
	s_delay_alu instid0(VALU_DEP_1) | instskip(SKIP_1) | instid1(VALU_DEP_2)
	v_mul_f32_e32 v89, 0x3fb8aa3b, v46
	v_add_nc_u32_e32 v46, 0x9fe34, v1
	v_exp_f32_e32 v89, v89
	s_waitcnt_depctr 0xfff
	v_cvt_f16_f32_e32 v89, v89
	s_waitcnt vmcnt(2)
	v_cvt_f32_f16_e32 v53, v53
	s_delay_alu instid0(VALU_DEP_1) | instskip(NEXT) | instid1(VALU_DEP_1)
	v_mul_f32_e32 v53, 0x3fb8aa3b, v53
	v_exp_f32_e32 v53, v53
	s_waitcnt vmcnt(0)
	v_cvt_f32_f16_e32 v50, v50
	s_delay_alu instid0(VALU_DEP_1) | instskip(SKIP_2) | instid1(VALU_DEP_3)
	v_mul_f32_e32 v50, 0x3fb8aa3b, v50
	v_cvt_f16_f32_e32 v78, v15
	v_lshlrev_b64 v[14:15], 1, v[20:21]
	v_exp_f32_e32 v50, v50
	s_delay_alu instid0(VALU_DEP_1) | instskip(NEXT) | instid1(VALU_DEP_2)
	v_add_co_u32 v20, vcc_lo, s16, v14
	v_add_co_ci_u32_e32 v21, vcc_lo, s17, v15, vcc_lo
	v_cmp_eq_u32_e32 vcc_lo, 46, v0
	global_load_u16 v51, v[20:21], off
	v_cvt_f16_f32_e32 v50, v50
	v_cndmask_b32_e32 v27, v25, v24, vcc_lo
	v_add_co_u32 v24, vcc_lo, s16, v12
	v_add_co_ci_u32_e32 v25, vcc_lo, s17, v13, vcc_lo
	v_add_co_u32 v47, vcc_lo, s10, v48
	v_add_co_ci_u32_e32 v48, vcc_lo, s11, v49, vcc_lo
	global_load_u16 v54, v[24:25], off
	v_add_nc_u32_e32 v20, 0x7fe90, v1
	v_add_nc_u32_e32 v24, 0x820ac, v1
	v_cvt_f16_f32_e32 v49, v27
	s_delay_alu instid0(VALU_DEP_3) | instskip(NEXT) | instid1(VALU_DEP_3)
	v_ashrrev_i32_e32 v21, 31, v20
	v_ashrrev_i32_e32 v25, 31, v24
	s_delay_alu instid0(VALU_DEP_2) | instskip(NEXT) | instid1(VALU_DEP_1)
	v_lshlrev_b64 v[20:21], 1, v[20:21]
	v_add_co_u32 v26, vcc_lo, s16, v20
	s_delay_alu instid0(VALU_DEP_2)
	v_add_co_ci_u32_e32 v27, vcc_lo, s17, v21, vcc_lo
	v_cmp_eq_u32_e32 vcc_lo, 47, v0
	global_load_u16 v55, v[26:27], off
	v_lshlrev_b64 v[26:27], 1, v[24:25]
	v_cndmask_b32_e32 v64, v68, v64, vcc_lo
	v_lshlrev_b64 v[24:25], 1, v[56:57]
	s_delay_alu instid0(VALU_DEP_3) | instskip(NEXT) | instid1(VALU_DEP_4)
	v_add_co_u32 v68, vcc_lo, s16, v26
	v_add_co_ci_u32_e32 v69, vcc_lo, s17, v27, vcc_lo
	v_add_co_u32 v72, vcc_lo, s10, v32
	v_add_co_ci_u32_e32 v73, vcc_lo, s11, v33, vcc_lo
	v_lshlrev_b64 v[32:33], 1, v[70:71]
	v_add_nc_u32_e32 v70, 0x88700, v1
	global_load_u16 v57, v[68:69], off
	v_add_co_u32 v68, vcc_lo, s16, v24
	v_add_co_ci_u32_e32 v69, vcc_lo, s17, v25, vcc_lo
	v_ashrrev_i32_e32 v71, 31, v70
	v_cvt_f16_f32_e32 v64, v64
	global_load_u16 v56, v[68:69], off
	s_clause 0x7
	global_store_b16 v[34:35], v45, off
	global_store_b16 v[36:37], v74, off
	;; [unrolled: 1-line block ×8, first 2 shown]
	v_cvt_f32_f16_e32 v35, v79
	v_add_nc_u32_e32 v34, 0x8a91c, v1
	v_lshlrev_b64 v[36:37], 1, v[70:71]
	v_mul_f32_e32 v38, 0x3fb8aa3b, v62
	v_add_co_u32 v68, vcc_lo, s16, v32
	v_mul_f32_e64 v42, v60, -v35
	v_ashrrev_i32_e32 v35, 31, v34
	v_add_co_ci_u32_e32 v69, vcc_lo, s17, v33, vcc_lo
	v_exp_f32_e32 v41, v38
	v_add_co_u32 v38, vcc_lo, s16, v36
	v_add_co_ci_u32_e32 v39, vcc_lo, s17, v37, vcc_lo
	v_lshlrev_b64 v[34:35], 1, v[34:35]
	v_fma_mix_f32 v40, -v59, v79, v58 op_sel_hi:[1,1,1]
	v_cmp_eq_u32_e32 vcc_lo, 48, v0
	global_load_u16 v64, v[38:39], off
	v_cvt_f32_f16_e32 v45, v65
	v_cvt_f16_f32_e32 v43, v41
	global_load_u16 v62, v[68:69], off
	v_cndmask_b32_e32 v42, v42, v40, vcc_lo
	v_add_co_u32 v40, vcc_lo, s16, v34
	v_add_co_ci_u32_e32 v41, vcc_lo, s17, v35, vcc_lo
	v_add_co_u32 v48, vcc_lo, s10, v28
	v_mul_f32_e32 v45, 0x3fb8aa3b, v45
	global_load_u16 v65, v[40:41], off
	v_add_nc_u32_e32 v38, 0x8cb38, v1
	v_add_co_ci_u32_e32 v49, vcc_lo, s11, v29, vcc_lo
	v_cvt_f32_f16_e32 v47, v43
	v_exp_f32_e32 v41, v45
	s_delay_alu instid0(VALU_DEP_3)
	v_ashrrev_i32_e32 v39, 31, v38
	v_cvt_f16_f32_e32 v83, v42
	v_fma_mix_f32 v42, -v59, v43, v58 op_sel_hi:[1,1,1]
	v_mul_f32_e64 v43, v60, -v47
	v_add_nc_u32_e32 v40, 0x8ed54, v1
	v_lshlrev_b64 v[28:29], 1, v[38:39]
	v_cvt_f32_f16_e32 v45, v63
	v_mul_f32_e32 v70, 0x3fb8aa3b, v61
	global_store_b16 v[48:49], v83, off
	v_add_nc_u32_e32 v48, 0xa2050, v1
	v_add_co_u32 v38, vcc_lo, s16, v28
	v_add_co_ci_u32_e32 v39, vcc_lo, s17, v29, vcc_lo
	v_cmp_eq_u32_e32 vcc_lo, 49, v0
	v_mul_f32_e32 v45, 0x3fb8aa3b, v45
	v_exp_f32_e32 v70, v70
	global_load_u16 v66, v[38:39], off
	v_ashrrev_i32_e32 v49, 31, v48
	v_cndmask_b32_e32 v42, v43, v42, vcc_lo
	v_cvt_f16_f32_e32 v43, v41
	v_ashrrev_i32_e32 v41, 31, v40
	v_add_co_u32 v73, vcc_lo, s10, v30
	v_add_co_ci_u32_e32 v74, vcc_lo, s11, v31, vcc_lo
	s_delay_alu instid0(VALU_DEP_4)
	v_cvt_f32_f16_e32 v31, v43
	v_add_nc_u32_e32 v30, 0x90f70, v1
	v_lshlrev_b64 v[38:39], 1, v[40:41]
	v_cvt_f16_f32_e32 v84, v42
	v_fma_mix_f32 v42, -v59, v43, v58 op_sel_hi:[1,1,1]
	v_mul_f32_e64 v43, v60, -v31
	v_ashrrev_i32_e32 v31, 31, v30
	v_exp_f32_e32 v45, v45
	v_add_co_u32 v40, vcc_lo, s16, v38
	v_add_co_ci_u32_e32 v41, vcc_lo, s17, v39, vcc_lo
	s_delay_alu instid0(VALU_DEP_3)
	v_lshlrev_b64 v[30:31], 1, v[30:31]
	v_cmp_eq_u32_e32 vcc_lo, 50, v0
	v_lshlrev_b64 v[48:49], 1, v[48:49]
	global_load_u16 v63, v[40:41], off
	v_cvt_f16_f32_e32 v45, v45
	v_cndmask_b32_e32 v47, v43, v42, vcc_lo
	v_add_co_u32 v42, vcc_lo, s16, v30
	v_add_co_ci_u32_e32 v43, vcc_lo, s17, v31, vcc_lo
	v_add_co_u32 v75, vcc_lo, s10, v22
	v_add_nc_u32_e32 v22, 0x953a8, v1
	global_load_u16 v67, v[42:43], off
	v_add_nc_u32_e32 v40, 0x9318c, v1
	v_add_co_ci_u32_e32 v76, vcc_lo, s11, v23, vcc_lo
	v_ashrrev_i32_e32 v23, 31, v22
	v_cvt_f16_f32_e32 v85, v47
	s_delay_alu instid0(VALU_DEP_4) | instskip(SKIP_3) | instid1(VALU_DEP_4)
	v_ashrrev_i32_e32 v41, 31, v40
	v_cvt_f32_f16_e32 v47, v45
	v_fma_mix_f32 v45, -v59, v45, v58 op_sel_hi:[1,1,1]
	v_lshlrev_b64 v[22:23], 1, v[22:23]
	v_lshlrev_b64 v[40:41], 1, v[40:41]
	s_delay_alu instid0(VALU_DEP_4) | instskip(NEXT) | instid1(VALU_DEP_2)
	v_mul_f32_e64 v47, v60, -v47
	v_add_co_u32 v42, vcc_lo, s16, v40
	s_delay_alu instid0(VALU_DEP_3)
	v_add_co_ci_u32_e32 v43, vcc_lo, s17, v41, vcc_lo
	v_add_co_u32 v68, vcc_lo, s16, v22
	v_add_co_ci_u32_e32 v69, vcc_lo, s17, v23, vcc_lo
	global_load_u16 v61, v[42:43], off
	v_cmp_eq_u32_e32 vcc_lo, 51, v0
	global_load_u16 v68, v[68:69], off
	v_add_nc_u32_e32 v42, 0x975c4, v1
	v_add_nc_u32_e32 v69, 0x997e0, v1
	v_cndmask_b32_e32 v47, v47, v45, vcc_lo
	v_add_co_u32 v77, vcc_lo, s10, v18
	s_delay_alu instid0(VALU_DEP_4)
	v_ashrrev_i32_e32 v43, 31, v42
	v_add_co_ci_u32_e32 v78, vcc_lo, s11, v19, vcc_lo
	v_cvt_f16_f32_e32 v18, v70
	v_cvt_f32_f16_e32 v19, v44
	v_ashrrev_i32_e32 v70, 31, v69
	v_lshlrev_b64 v[42:43], 1, v[42:43]
	v_cvt_f16_f32_e32 v86, v47
	v_cvt_f32_f16_e32 v71, v18
	v_mul_f32_e32 v72, 0x3fb8aa3b, v19
	v_fma_mix_f32 v79, -v59, v18, v58 op_sel_hi:[1,1,1]
	v_lshlrev_b64 v[18:19], 1, v[69:70]
	v_add_co_u32 v44, vcc_lo, s16, v42
	v_add_co_ci_u32_e32 v45, vcc_lo, s17, v43, vcc_lo
	v_mul_f32_e64 v80, v60, -v71
	s_delay_alu instid0(VALU_DEP_4)
	v_add_co_u32 v70, vcc_lo, s16, v18
	v_add_co_ci_u32_e32 v71, vcc_lo, s17, v19, vcc_lo
	global_load_u16 v69, v[44:45], off
	v_cmp_eq_u32_e32 vcc_lo, 52, v0
	v_exp_f32_e32 v72, v72
	global_load_u16 v70, v[70:71], off
	v_dual_cndmask_b32 v47, v80, v79 :: v_dual_add_nc_u32 v44, 0x9b9fc, v1
	v_add_co_u32 v79, vcc_lo, s10, v16
	s_delay_alu instid0(VALU_DEP_2) | instskip(SKIP_3) | instid1(VALU_DEP_4)
	v_ashrrev_i32_e32 v45, 31, v44
	v_add_nc_u32_e32 v16, 0x9dc18, v1
	v_add_co_ci_u32_e32 v80, vcc_lo, s11, v17, vcc_lo
	v_cvt_f16_f32_e32 v81, v72
	v_lshlrev_b64 v[44:45], 1, v[44:45]
	s_delay_alu instid0(VALU_DEP_4) | instskip(SKIP_1) | instid1(VALU_DEP_4)
	v_ashrrev_i32_e32 v17, 31, v16
	v_cvt_f16_f32_e32 v87, v47
	v_cvt_f32_f16_e32 v47, v81
	s_delay_alu instid0(VALU_DEP_4) | instskip(NEXT) | instid1(VALU_DEP_4)
	v_add_co_u32 v71, vcc_lo, s16, v44
	v_lshlrev_b64 v[16:17], 1, v[16:17]
	v_add_co_ci_u32_e32 v72, vcc_lo, s17, v45, vcc_lo
	s_delay_alu instid0(VALU_DEP_4)
	v_mul_f32_e64 v88, v60, -v47
	v_ashrrev_i32_e32 v47, 31, v46
	global_load_u16 v71, v[71:72], off
	v_fma_mix_f32 v72, -v59, v81, v58 op_sel_hi:[1,1,1]
	v_add_co_u32 v81, vcc_lo, s16, v16
	v_add_co_ci_u32_e32 v82, vcc_lo, s17, v17, vcc_lo
	v_cmp_eq_u32_e32 vcc_lo, 53, v0
	v_lshlrev_b64 v[46:47], 1, v[46:47]
	v_cndmask_b32_e32 v88, v88, v72, vcc_lo
	global_load_u16 v72, v[81:82], off
	v_add_co_u32 v81, vcc_lo, s10, v10
	s_clause 0x3
	global_store_b16 v[73:74], v84, off
	global_store_b16 v[75:76], v85, off
	;; [unrolled: 1-line block ×4, first 2 shown]
	v_cvt_f32_f16_e32 v73, v89
	v_add_co_ci_u32_e32 v82, vcc_lo, s11, v11, vcc_lo
	v_add_co_u32 v10, vcc_lo, s16, v46
	v_add_co_ci_u32_e32 v11, vcc_lo, s17, v47, vcc_lo
	s_delay_alu instid0(VALU_DEP_4)
	v_mul_f32_e64 v76, v60, -v73
	v_add_co_u32 v73, vcc_lo, s16, v48
	v_add_co_ci_u32_e32 v74, vcc_lo, s17, v49, vcc_lo
	global_load_u16 v79, v[10:11], off
	v_fma_mix_f32 v75, -v59, v89, v58 op_sel_hi:[1,1,1]
	v_cmp_eq_u32_e32 vcc_lo, 54, v0
	global_load_u16 v80, v[73:74], off
	v_add_nc_u32_e32 v10, 0xa426c, v1
	v_add_nc_u32_e32 v73, 0xa6488, v1
	v_cvt_f32_f16_e32 v78, v52
	v_dual_cndmask_b32 v77, v76, v75 :: v_dual_add_nc_u32 v52, 0xa86a4, v1
	s_delay_alu instid0(VALU_DEP_4) | instskip(NEXT) | instid1(VALU_DEP_4)
	v_ashrrev_i32_e32 v11, 31, v10
	v_ashrrev_i32_e32 v74, 31, v73
	v_cvt_f16_f32_e32 v85, v53
	s_delay_alu instid0(VALU_DEP_4)
	v_ashrrev_i32_e32 v53, 31, v52
	v_cvt_f16_f32_e32 v84, v77
	v_lshlrev_b64 v[10:11], 1, v[10:11]
	v_lshlrev_b64 v[73:74], 1, v[73:74]
	v_mul_f32_e32 v78, 0x3fb8aa3b, v78
	v_add_nc_u32_e32 v77, 0xaa8c0, v1
	v_lshlrev_b64 v[52:53], 1, v[52:53]
	v_cvt_f32_f16_e32 v1, v85
	v_add_co_u32 v75, vcc_lo, s16, v10
	v_add_co_ci_u32_e32 v76, vcc_lo, s17, v11, vcc_lo
	v_add_co_u32 v6, vcc_lo, s10, v6
	v_add_co_ci_u32_e32 v7, vcc_lo, s11, v7, vcc_lo
	global_load_u16 v83, v[75:76], off
	v_add_co_u32 v75, vcc_lo, s16, v73
	v_add_co_ci_u32_e32 v76, vcc_lo, s17, v74, vcc_lo
	v_exp_f32_e32 v86, v78
	v_ashrrev_i32_e32 v78, 31, v77
	v_fma_mix_f32 v85, -v59, v85, v58 op_sel_hi:[1,1,1]
	global_load_u16 v87, v[75:76], off
	v_add_co_u32 v75, vcc_lo, s16, v52
	v_lshlrev_b64 v[77:78], 1, v[77:78]
	v_add_co_ci_u32_e32 v76, vcc_lo, s17, v53, vcc_lo
	v_mul_f32_e64 v1, v60, -v1
	v_cvt_f16_f32_e32 v86, v86
	v_cvt_f16_f32_e32 v88, v88
	global_load_u16 v89, v[75:76], off
	v_add_co_u32 v75, vcc_lo, s16, v77
	v_add_co_ci_u32_e32 v76, vcc_lo, s17, v78, vcc_lo
	v_cmp_eq_u32_e32 vcc_lo, 55, v0
	v_cvt_f32_f16_e32 v90, v86
	global_load_u16 v75, v[75:76], off
	v_fma_mix_f32 v76, -v59, v86, v58 op_sel_hi:[1,1,1]
	v_cndmask_b32_e32 v85, v1, v85, vcc_lo
	v_add_co_u32 v1, vcc_lo, s10, v2
	v_add_co_ci_u32_e32 v2, vcc_lo, s11, v3, vcc_lo
	s_waitcnt vmcnt(22)
	v_cvt_f32_f16_e32 v3, v51
	v_cvt_f16_f32_e32 v51, v85
	v_mul_f32_e64 v85, v60, -v90
	v_cmp_eq_u32_e32 vcc_lo, 56, v0
	s_clause 0x2
	global_store_b16 v[81:82], v88, off
	global_store_b16 v[6:7], v84, off
	;; [unrolled: 1-line block ×3, first 2 shown]
	v_mul_f32_e32 v3, 0x3fb8aa3b, v3
	v_cvt_f32_f16_e32 v7, v50
	v_cndmask_b32_e32 v6, v85, v76, vcc_lo
	s_waitcnt vmcnt(21)
	v_cvt_f32_f16_e32 v51, v54
	v_exp_f32_e32 v3, v3
	v_add_co_u32 v1, vcc_lo, s10, v4
	v_add_co_ci_u32_e32 v2, vcc_lo, s11, v5, vcc_lo
	v_fma_mix_f32 v4, -v59, v50, v58 op_sel_hi:[1,1,1]
	v_mul_f32_e64 v5, v60, -v7
	v_mul_f32_e32 v7, 0x3fb8aa3b, v51
	v_cmp_eq_u32_e32 vcc_lo, 57, v0
	v_cvt_f16_f32_e32 v51, v6
	s_delay_alu instid0(TRANS32_DEP_1) | instskip(NEXT) | instid1(VALU_DEP_4)
	v_cvt_f16_f32_e32 v50, v3
	v_exp_f32_e32 v6, v7
	v_cndmask_b32_e32 v5, v5, v4, vcc_lo
	v_add_co_u32 v3, vcc_lo, s10, v8
	s_delay_alu instid0(VALU_DEP_3) | instskip(SKIP_3) | instid1(VALU_DEP_4)
	v_cvt_f32_f16_e32 v7, v50
	v_add_co_ci_u32_e32 v4, vcc_lo, s11, v9, vcc_lo
	v_fma_mix_f32 v8, -v59, v50, v58 op_sel_hi:[1,1,1]
	v_cmp_eq_u32_e32 vcc_lo, 58, v0
	v_mul_f32_e64 v7, v60, -v7
	s_delay_alu instid0(TRANS32_DEP_1) | instskip(SKIP_2) | instid1(VALU_DEP_3)
	v_cvt_f16_f32_e32 v50, v6
	s_waitcnt vmcnt(20)
	v_cvt_f32_f16_e32 v54, v55
	v_cndmask_b32_e32 v7, v7, v8, vcc_lo
	s_delay_alu instid0(VALU_DEP_2) | instskip(SKIP_3) | instid1(VALU_DEP_4)
	v_mul_f32_e32 v9, 0x3fb8aa3b, v54
	v_cvt_f16_f32_e32 v54, v5
	v_add_co_u32 v5, vcc_lo, s10, v14
	v_add_co_ci_u32_e32 v6, vcc_lo, s11, v15, vcc_lo
	v_exp_f32_e32 v8, v9
	v_cvt_f32_f16_e32 v9, v50
	v_fma_mix_f32 v14, -v59, v50, v58 op_sel_hi:[1,1,1]
	v_cmp_eq_u32_e32 vcc_lo, 59, v0
	s_waitcnt vmcnt(19)
	v_cvt_f32_f16_e32 v55, v57
	v_mul_f32_e64 v9, v60, -v9
	s_waitcnt_depctr 0xfff
	v_cvt_f16_f32_e32 v50, v8
	v_mul_f32_e32 v15, 0x3fb8aa3b, v55
	v_cndmask_b32_e32 v9, v9, v14, vcc_lo
	v_cvt_f16_f32_e32 v55, v7
	s_waitcnt vmcnt(18)
	v_cvt_f32_f16_e32 v56, v56
	v_add_co_u32 v7, vcc_lo, s10, v12
	v_exp_f32_e32 v14, v15
	v_cvt_f32_f16_e32 v15, v50
	v_add_co_ci_u32_e32 v8, vcc_lo, s11, v13, vcc_lo
	v_fma_mix_f32 v12, -v59, v50, v58 op_sel_hi:[1,1,1]
	v_cmp_eq_u32_e32 vcc_lo, 60, v0
	s_delay_alu instid0(VALU_DEP_4) | instskip(SKIP_2) | instid1(TRANS32_DEP_1)
	v_mul_f32_e64 v13, v60, -v15
	v_mul_f32_e32 v15, 0x3fb8aa3b, v56
	v_cvt_f16_f32_e32 v9, v9
	v_cvt_f16_f32_e32 v14, v14
	s_delay_alu instid0(VALU_DEP_4) | instskip(NEXT) | instid1(VALU_DEP_4)
	v_cndmask_b32_e32 v50, v13, v12, vcc_lo
	v_exp_f32_e32 v15, v15
	v_add_co_u32 v12, vcc_lo, s10, v20
	s_delay_alu instid0(VALU_DEP_3)
	v_cvt_f32_f16_e32 v56, v14
	v_add_co_ci_u32_e32 v13, vcc_lo, s11, v21, vcc_lo
	v_fma_mix_f32 v14, -v59, v14, v58 op_sel_hi:[1,1,1]
	v_cmp_eq_u32_e32 vcc_lo, 61, v0
	s_waitcnt vmcnt(16)
	v_cvt_f32_f16_e32 v57, v62
	v_mul_f32_e64 v20, v60, -v56
	s_delay_alu instid0(TRANS32_DEP_1) | instskip(SKIP_2) | instid1(VALU_DEP_4)
	v_cvt_f16_f32_e32 v56, v15
	v_cvt_f32_f16_e32 v62, v64
	v_cvt_f16_f32_e32 v50, v50
	v_dual_mul_f32 v21, 0x3fb8aa3b, v57 :: v_dual_cndmask_b32 v20, v20, v14
	s_delay_alu instid0(VALU_DEP_4) | instskip(SKIP_1) | instid1(VALU_DEP_3)
	v_cvt_f32_f16_e32 v57, v56
	v_add_co_u32 v14, vcc_lo, s10, v26
	v_exp_f32_e32 v21, v21
	v_add_co_ci_u32_e32 v15, vcc_lo, s11, v27, vcc_lo
	v_fma_mix_f32 v26, -v59, v56, v58 op_sel_hi:[1,1,1]
	v_mul_f32_e64 v27, v60, -v57
	v_mul_f32_e32 v56, 0x3fb8aa3b, v62
	v_cmp_eq_u32_e32 vcc_lo, 62, v0
	s_waitcnt vmcnt(15)
	v_cvt_f32_f16_e32 v64, v65
	v_cvt_f16_f32_e32 v62, v20
	s_delay_alu instid0(TRANS32_DEP_1) | instskip(SKIP_3) | instid1(VALU_DEP_3)
	v_cvt_f16_f32_e32 v57, v21
	v_cndmask_b32_e32 v26, v27, v26, vcc_lo
	v_exp_f32_e32 v27, v56
	v_add_co_u32 v20, vcc_lo, s10, v24
	v_cvt_f32_f16_e32 v56, v57
	v_add_co_ci_u32_e32 v21, vcc_lo, s11, v25, vcc_lo
	v_fma_mix_f32 v24, -v59, v57, v58 op_sel_hi:[1,1,1]
	v_cmp_eq_u32_e32 vcc_lo, 63, v0
	s_delay_alu instid0(VALU_DEP_4) | instskip(SKIP_1) | instid1(TRANS32_DEP_1)
	v_mul_f32_e64 v25, v60, -v56
	v_mul_f32_e32 v56, 0x3fb8aa3b, v64
	v_cvt_f16_f32_e32 v27, v27
	v_cvt_f16_f32_e32 v26, v26
	s_delay_alu instid0(VALU_DEP_4) | instskip(NEXT) | instid1(VALU_DEP_4)
	v_cndmask_b32_e32 v57, v25, v24, vcc_lo
	v_exp_f32_e32 v56, v56
	v_add_co_u32 v24, vcc_lo, s10, v32
	s_waitcnt vmcnt(14)
	v_cvt_f32_f16_e32 v32, v66
	v_cvt_f32_f16_e32 v64, v27
	v_add_co_ci_u32_e32 v25, vcc_lo, s11, v33, vcc_lo
	v_cvt_f16_f32_e32 v33, v57
	s_delay_alu instid0(VALU_DEP_4)
	v_mul_f32_e32 v32, 0x3fb8aa3b, v32
	s_clause 0x7
	global_store_b16 v[1:2], v51, off
	global_store_b16 v[3:4], v54, off
	;; [unrolled: 1-line block ×8, first 2 shown]
	v_cvt_f16_f32_e32 v56, v56
	v_fma_mix_f32 v27, -v59, v27, v58 op_sel_hi:[1,1,1]
	v_mul_f32_e64 v57, v60, -v64
	v_exp_f32_e32 v4, v32
	v_cmp_eq_u32_e32 vcc_lo, 64, v0
	v_cvt_f32_f16_e32 v5, v56
	v_fma_mix_f32 v7, -v59, v56, v58 op_sel_hi:[1,1,1]
	v_cndmask_b32_e32 v3, v57, v27, vcc_lo
	v_add_co_u32 v1, vcc_lo, s10, v36
	s_waitcnt vmcnt(13)
	v_cvt_f32_f16_e32 v6, v63
	v_add_co_ci_u32_e32 v2, vcc_lo, s11, v37, vcc_lo
	v_mul_f32_e64 v5, v60, -v5
	v_cvt_f16_f32_e32 v8, v4
	s_delay_alu instid0(VALU_DEP_4) | instskip(SKIP_2) | instid1(VALU_DEP_3)
	v_mul_f32_e32 v6, 0x3fb8aa3b, v6
	v_cmp_eq_u32_e32 vcc_lo, 0x41, v0
	v_cvt_f16_f32_e32 v9, v3
	v_exp_f32_e32 v6, v6
	v_cndmask_b32_e32 v5, v5, v7, vcc_lo
	v_cvt_f32_f16_e32 v7, v8
	s_waitcnt vmcnt(12)
	v_cvt_f32_f16_e32 v12, v67
	v_add_co_u32 v3, vcc_lo, s10, v34
	v_add_co_ci_u32_e32 v4, vcc_lo, s11, v35, vcc_lo
	v_fma_mix_f32 v8, -v59, v8, v58 op_sel_hi:[1,1,1]
	v_mul_f32_e64 v7, v60, -v7
	v_mul_f32_e32 v12, 0x3fb8aa3b, v12
	v_cvt_f16_f32_e32 v13, v6
	v_cmp_eq_u32_e32 vcc_lo, 0x42, v0
	v_cvt_f16_f32_e32 v24, v5
	v_cndmask_b32_e32 v7, v7, v8, vcc_lo
	v_exp_f32_e32 v8, v12
	v_cvt_f32_f16_e32 v12, v13
	v_add_co_u32 v5, vcc_lo, s10, v28
	v_add_co_ci_u32_e32 v6, vcc_lo, s11, v29, vcc_lo
	v_fma_mix_f32 v13, -v59, v13, v58 op_sel_hi:[1,1,1]
	s_waitcnt vmcnt(11)
	v_cvt_f32_f16_e32 v14, v61
	v_mul_f32_e64 v12, v60, -v12
	v_cmp_eq_u32_e32 vcc_lo, 0x43, v0
	s_delay_alu instid0(TRANS32_DEP_1)
	v_cvt_f16_f32_e32 v15, v8
	s_waitcnt vmcnt(10)
	v_cvt_f32_f16_e32 v20, v68
	v_mul_f32_e32 v14, 0x3fb8aa3b, v14
	v_cvt_f16_f32_e32 v25, v7
	v_cndmask_b32_e32 v12, v12, v13, vcc_lo
	v_add_co_u32 v7, vcc_lo, s10, v38
	s_delay_alu instid0(VALU_DEP_4) | instskip(SKIP_4) | instid1(VALU_DEP_4)
	v_exp_f32_e32 v13, v14
	v_cvt_f32_f16_e32 v14, v15
	v_add_co_ci_u32_e32 v8, vcc_lo, s11, v39, vcc_lo
	v_fma_mix_f32 v15, -v59, v15, v58 op_sel_hi:[1,1,1]
	v_mul_f32_e32 v20, 0x3fb8aa3b, v20
	v_mul_f32_e64 v14, v60, -v14
	v_cmp_eq_u32_e32 vcc_lo, 0x44, v0
	v_cvt_f16_f32_e32 v26, v12
	s_delay_alu instid0(TRANS32_DEP_1) | instskip(NEXT) | instid1(VALU_DEP_4)
	v_cvt_f16_f32_e32 v21, v13
	v_cndmask_b32_e32 v14, v14, v15, vcc_lo
	v_exp_f32_e32 v15, v20
	v_add_co_u32 v12, vcc_lo, s10, v30
	s_delay_alu instid0(VALU_DEP_3)
	v_cvt_f32_f16_e32 v20, v21
	v_add_co_ci_u32_e32 v13, vcc_lo, s11, v31, vcc_lo
	v_fma_mix_f32 v21, -v59, v21, v58 op_sel_hi:[1,1,1]
	s_waitcnt vmcnt(9)
	v_cvt_f32_f16_e32 v27, v69
	v_mul_f32_e64 v20, v60, -v20
	v_cmp_eq_u32_e32 vcc_lo, 0x45, v0
	s_delay_alu instid0(TRANS32_DEP_1)
	v_cvt_f16_f32_e32 v28, v15
	s_waitcnt vmcnt(8)
	v_cvt_f32_f16_e32 v30, v70
	v_cvt_f16_f32_e32 v29, v14
	v_cndmask_b32_e32 v20, v20, v21, vcc_lo
	v_add_co_u32 v14, vcc_lo, s10, v40
	v_add_co_ci_u32_e32 v15, vcc_lo, s11, v41, vcc_lo
	v_mul_f32_e32 v30, 0x3fb8aa3b, v30
	v_cmp_eq_u32_e32 vcc_lo, 0x46, v0
	v_cvt_f16_f32_e32 v32, v20
	s_waitcnt vmcnt(7)
	v_cvt_f32_f16_e32 v33, v71
	v_mul_f32_e32 v27, 0x3fb8aa3b, v27
	s_delay_alu instid0(VALU_DEP_1) | instskip(SKIP_2) | instid1(VALU_DEP_2)
	v_exp_f32_e32 v21, v27
	v_cvt_f32_f16_e32 v27, v28
	v_fma_mix_f32 v28, -v59, v28, v58 op_sel_hi:[1,1,1]
	v_mul_f32_e64 v27, v60, -v27
	s_waitcnt vmcnt(6)
	v_cvt_f32_f16_e32 v34, v72
	s_waitcnt_depctr 0xfff
	v_cvt_f16_f32_e32 v31, v21
	v_cndmask_b32_e32 v27, v27, v28, vcc_lo
	v_exp_f32_e32 v28, v30
	v_add_co_u32 v20, vcc_lo, s10, v22
	s_delay_alu instid0(VALU_DEP_3) | instskip(SKIP_3) | instid1(VALU_DEP_4)
	v_cvt_f32_f16_e32 v30, v31
	v_add_co_ci_u32_e32 v21, vcc_lo, s11, v23, vcc_lo
	v_fma_mix_f32 v22, -v59, v31, v58 op_sel_hi:[1,1,1]
	v_cmp_eq_u32_e32 vcc_lo, 0x47, v0
	v_mul_f32_e64 v23, v60, -v30
	v_mul_f32_e32 v30, 0x3fb8aa3b, v33
	s_delay_alu instid0(TRANS32_DEP_1)
	v_cvt_f16_f32_e32 v28, v28
	v_mul_f32_e32 v34, 0x3fb8aa3b, v34
	v_cvt_f16_f32_e32 v27, v27
	v_cndmask_b32_e32 v31, v23, v22, vcc_lo
	v_exp_f32_e32 v30, v30
	v_cvt_f32_f16_e32 v33, v28
	v_add_co_u32 v22, vcc_lo, s10, v42
	v_add_co_ci_u32_e32 v23, vcc_lo, s11, v43, vcc_lo
	v_cvt_f16_f32_e32 v31, v31
	s_clause 0x7
	global_store_b16 v[1:2], v9, off
	global_store_b16 v[3:4], v24, off
	;; [unrolled: 1-line block ×8, first 2 shown]
	v_exp_f32_e32 v4, v34
	s_waitcnt vmcnt(5)
	v_cvt_f32_f16_e32 v6, v79
	v_cvt_f16_f32_e32 v30, v30
	v_fma_mix_f32 v28, -v59, v28, v58 op_sel_hi:[1,1,1]
	v_mul_f32_e64 v33, v60, -v33
	v_cmp_eq_u32_e32 vcc_lo, 0x48, v0
	s_waitcnt vmcnt(4)
	v_cvt_f32_f16_e32 v9, v80
	v_cvt_f32_f16_e32 v5, v30
	v_mul_f32_e32 v6, 0x3fb8aa3b, v6
	v_fma_mix_f32 v7, -v59, v30, v58 op_sel_hi:[1,1,1]
	v_cndmask_b32_e32 v3, v33, v28, vcc_lo
	v_mul_f32_e32 v9, 0x3fb8aa3b, v9
	v_add_co_u32 v1, vcc_lo, s10, v18
	v_add_co_ci_u32_e32 v2, vcc_lo, s11, v19, vcc_lo
	v_mul_f32_e64 v5, v60, -v5
	v_cvt_f16_f32_e32 v8, v4
	v_cmp_eq_u32_e32 vcc_lo, 0x49, v0
	v_exp_f32_e32 v6, v6
	v_cvt_f16_f32_e32 v20, v3
	v_exp_f32_e32 v9, v9
	s_waitcnt vmcnt(3)
	v_cvt_f32_f16_e32 v13, v83
	v_cndmask_b32_e32 v5, v5, v7, vcc_lo
	v_cvt_f32_f16_e32 v7, v8
	v_add_co_u32 v3, vcc_lo, s10, v44
	v_add_co_ci_u32_e32 v4, vcc_lo, s11, v45, vcc_lo
	v_fma_mix_f32 v8, -v59, v8, v58 op_sel_hi:[1,1,1]
	s_delay_alu instid0(VALU_DEP_4)
	v_mul_f32_e64 v7, v60, -v7
	v_cvt_f16_f32_e32 v12, v6
	v_cmp_eq_u32_e32 vcc_lo, 0x4a, v0
	s_waitcnt vmcnt(2)
	v_cvt_f32_f16_e32 v15, v87
	v_cvt_f16_f32_e32 v21, v5
	v_cvt_f16_f32_e32 v9, v9
	v_cndmask_b32_e32 v7, v7, v8, vcc_lo
	v_cvt_f32_f16_e32 v8, v12
	v_add_co_u32 v5, vcc_lo, s10, v16
	s_waitcnt vmcnt(0)
	v_cvt_f32_f16_e32 v18, v75
	v_add_co_ci_u32_e32 v6, vcc_lo, s11, v17, vcc_lo
	v_fma_mix_f32 v12, -v59, v12, v58 op_sel_hi:[1,1,1]
	v_mul_f32_e64 v8, v60, -v8
	v_cmp_eq_u32_e32 vcc_lo, 0x4b, v0
	v_dual_mul_f32 v15, 0x3fb8aa3b, v15 :: v_dual_mul_f32 v18, 0x3fb8aa3b, v18
	v_cvt_f32_f16_e32 v14, v9
	v_cvt_f16_f32_e32 v22, v7
	v_cndmask_b32_e32 v12, v8, v12, vcc_lo
	v_add_co_u32 v7, vcc_lo, s10, v46
	v_exp_f32_e32 v18, v18
	v_add_co_ci_u32_e32 v8, vcc_lo, s11, v47, vcc_lo
	s_delay_alu instid0(VALU_DEP_3)
	v_cvt_f16_f32_e32 v23, v12
	v_cvt_f32_f16_e32 v12, v89
	v_mul_f32_e32 v13, 0x3fb8aa3b, v13
	v_fma_mix_f32 v9, -v59, v9, v58 op_sel_hi:[1,1,1]
	v_mul_f32_e64 v14, v60, -v14
	v_exp_f32_e32 v15, v15
	v_mul_f32_e32 v16, 0x3fb8aa3b, v12
	v_exp_f32_e32 v13, v13
	v_cvt_f16_f32_e32 v18, v18
	v_cmp_eq_u32_e32 vcc_lo, 0x4c, v0
	s_delay_alu instid0(VALU_DEP_3) | instskip(NEXT) | instid1(VALU_DEP_2)
	v_exp_f32_e32 v16, v16
	v_cvt_f32_f16_e32 v19, v18
	v_fma_mix_f32 v18, -v59, v18, v58 op_sel_hi:[1,1,1]
	s_delay_alu instid0(TRANS32_DEP_3) | instskip(NEXT) | instid1(VALU_DEP_3)
	v_cvt_f16_f32_e32 v15, v15
	v_mul_f32_e64 v19, v60, -v19
	v_cndmask_b32_e32 v9, v14, v9, vcc_lo
	s_delay_alu instid0(TRANS32_DEP_2) | instskip(SKIP_2) | instid1(VALU_DEP_3)
	v_cvt_f16_f32_e32 v14, v13
	v_add_co_u32 v12, vcc_lo, s10, v48
	v_add_co_ci_u32_e32 v13, vcc_lo, s11, v49, vcc_lo
	v_cvt_f32_f16_e32 v17, v14
	v_fma_mix_f32 v14, -v59, v14, v58 op_sel_hi:[1,1,1]
	v_cvt_f16_f32_e32 v24, v9
	v_cvt_f32_f16_e32 v9, v15
	v_cmp_eq_u32_e32 vcc_lo, 0x4d, v0
	v_mul_f32_e64 v17, v60, -v17
	v_cvt_f16_f32_e32 v16, v16
	v_fma_mix_f32 v15, -v59, v15, v58 op_sel_hi:[1,1,1]
	s_delay_alu instid0(VALU_DEP_3)
	v_cndmask_b32_e32 v14, v17, v14, vcc_lo
	v_mul_f32_e64 v17, v60, -v9
	v_add_co_u32 v9, vcc_lo, s10, v10
	v_add_co_ci_u32_e32 v10, vcc_lo, s11, v11, vcc_lo
	v_cmp_eq_u32_e32 vcc_lo, 0x4e, v0
	v_cvt_f32_f16_e32 v11, v16
	v_cvt_f16_f32_e32 v25, v14
	v_fma_mix_f32 v16, -v59, v16, v58 op_sel_hi:[1,1,1]
	v_cndmask_b32_e32 v17, v17, v15, vcc_lo
	v_add_co_u32 v14, vcc_lo, s10, v73
	v_add_co_ci_u32_e32 v15, vcc_lo, s11, v74, vcc_lo
	v_mul_f32_e64 v11, v60, -v11
	v_cmp_eq_u32_e32 vcc_lo, 0x4f, v0
	v_cvt_f16_f32_e32 v26, v17
	s_delay_alu instid0(VALU_DEP_3) | instskip(SKIP_3) | instid1(VALU_DEP_4)
	v_cndmask_b32_e32 v11, v11, v16, vcc_lo
	v_add_co_u32 v16, vcc_lo, s10, v52
	v_add_co_ci_u32_e32 v17, vcc_lo, s11, v53, vcc_lo
	v_cmp_eq_u32_e32 vcc_lo, 0x50, v0
	v_cvt_f16_f32_e32 v11, v11
	v_cndmask_b32_e32 v0, v19, v18, vcc_lo
	v_add_co_u32 v18, vcc_lo, s10, v77
	v_add_co_ci_u32_e32 v19, vcc_lo, s11, v78, vcc_lo
	s_delay_alu instid0(VALU_DEP_3)
	v_cvt_f16_f32_e32 v0, v0
	s_clause 0x8
	global_store_b16 v[1:2], v20, off
	global_store_b16 v[3:4], v21, off
	;; [unrolled: 1-line block ×9, first 2 shown]
.LBB0_4:
	s_nop 0
	s_sendmsg sendmsg(MSG_DEALLOC_VGPRS)
	s_endpgm
	.section	.rodata,"a",@progbits
	.p2align	6, 0x0
	.amdhsa_kernel _Z8loss_bwdI6__halfS0_EvPKT_PKT0_S6_PKlS3_S8_PS4_
		.amdhsa_group_segment_fixed_size 0
		.amdhsa_private_segment_fixed_size 0
		.amdhsa_kernarg_size 56
		.amdhsa_user_sgpr_count 14
		.amdhsa_user_sgpr_dispatch_ptr 0
		.amdhsa_user_sgpr_queue_ptr 0
		.amdhsa_user_sgpr_kernarg_segment_ptr 1
		.amdhsa_user_sgpr_dispatch_id 0
		.amdhsa_user_sgpr_private_segment_size 0
		.amdhsa_wavefront_size32 1
		.amdhsa_uses_dynamic_stack 0
		.amdhsa_enable_private_segment 0
		.amdhsa_system_sgpr_workgroup_id_x 1
		.amdhsa_system_sgpr_workgroup_id_y 1
		.amdhsa_system_sgpr_workgroup_id_z 0
		.amdhsa_system_sgpr_workgroup_info 0
		.amdhsa_system_vgpr_workitem_id 0
		.amdhsa_next_free_vgpr 97
		.amdhsa_next_free_sgpr 20
		.amdhsa_reserve_vcc 1
		.amdhsa_float_round_mode_32 0
		.amdhsa_float_round_mode_16_64 0
		.amdhsa_float_denorm_mode_32 3
		.amdhsa_float_denorm_mode_16_64 3
		.amdhsa_dx10_clamp 1
		.amdhsa_ieee_mode 1
		.amdhsa_fp16_overflow 0
		.amdhsa_workgroup_processor_mode 1
		.amdhsa_memory_ordered 1
		.amdhsa_forward_progress 0
		.amdhsa_shared_vgpr_count 0
		.amdhsa_exception_fp_ieee_invalid_op 0
		.amdhsa_exception_fp_denorm_src 0
		.amdhsa_exception_fp_ieee_div_zero 0
		.amdhsa_exception_fp_ieee_overflow 0
		.amdhsa_exception_fp_ieee_underflow 0
		.amdhsa_exception_fp_ieee_inexact 0
		.amdhsa_exception_int_div_zero 0
	.end_amdhsa_kernel
	.text
.Lfunc_end0:
	.size	_Z8loss_bwdI6__halfS0_EvPKT_PKT0_S6_PKlS3_S8_PS4_, .Lfunc_end0-_Z8loss_bwdI6__halfS0_EvPKT_PKT0_S6_PKlS3_S8_PS4_
                                        ; -- End function
	.section	.AMDGPU.csdata,"",@progbits
; Kernel info:
; codeLenInByte = 10284
; NumSgprs: 22
; NumVgprs: 97
; ScratchSize: 0
; MemoryBound: 0
; FloatMode: 240
; IeeeMode: 1
; LDSByteSize: 0 bytes/workgroup (compile time only)
; SGPRBlocks: 2
; VGPRBlocks: 12
; NumSGPRsForWavesPerEU: 22
; NumVGPRsForWavesPerEU: 97
; Occupancy: 12
; WaveLimiterHint : 1
; COMPUTE_PGM_RSRC2:SCRATCH_EN: 0
; COMPUTE_PGM_RSRC2:USER_SGPR: 14
; COMPUTE_PGM_RSRC2:TRAP_HANDLER: 0
; COMPUTE_PGM_RSRC2:TGID_X_EN: 1
; COMPUTE_PGM_RSRC2:TGID_Y_EN: 1
; COMPUTE_PGM_RSRC2:TGID_Z_EN: 0
; COMPUTE_PGM_RSRC2:TIDIG_COMP_CNT: 0
	.section	.text._Z8loss_bwdIffEvPKT_PKT0_S5_PKlS2_S7_PS3_,"axG",@progbits,_Z8loss_bwdIffEvPKT_PKT0_S5_PKlS2_S7_PS3_,comdat
	.protected	_Z8loss_bwdIffEvPKT_PKT0_S5_PKlS2_S7_PS3_ ; -- Begin function _Z8loss_bwdIffEvPKT_PKT0_S5_PKlS2_S7_PS3_
	.globl	_Z8loss_bwdIffEvPKT_PKT0_S5_PKlS2_S7_PS3_
	.p2align	8
	.type	_Z8loss_bwdIffEvPKT_PKT0_S5_PKlS2_S7_PS3_,@function
_Z8loss_bwdIffEvPKT_PKT0_S5_PKlS2_S7_PS3_: ; @_Z8loss_bwdIffEvPKT_PKT0_S5_PKlS2_S7_PS3_
; %bb.0:
	v_lshl_add_u32 v0, s14, 6, v0
	s_mov_b32 s2, exec_lo
	s_delay_alu instid0(VALU_DEP_1)
	v_cmpx_gt_i32_e32 0x221c, v0
	s_cbranch_execz .LBB1_4
; %bb.1:
	s_load_b256 s[4:11], s[0:1], 0x18
	v_mad_u64_u32 v[3:4], null, 0x221c, s15, v[0:1]
	s_load_b128 s[16:19], s[0:1], 0x0
	s_mov_b32 s2, exec_lo
	s_delay_alu instid0(VALU_DEP_1) | instskip(NEXT) | instid1(VALU_DEP_1)
	v_ashrrev_i32_e32 v4, 31, v3
	v_lshlrev_b64 v[0:1], 3, v[3:4]
	v_lshlrev_b64 v[4:5], 2, v[3:4]
	s_waitcnt lgkmcnt(0)
	s_delay_alu instid0(VALU_DEP_2) | instskip(NEXT) | instid1(VALU_DEP_3)
	v_add_co_u32 v6, vcc_lo, s8, v0
	v_add_co_ci_u32_e32 v7, vcc_lo, s9, v1, vcc_lo
	v_add_co_u32 v0, vcc_lo, s4, v0
	v_add_co_ci_u32_e32 v1, vcc_lo, s5, v1, vcc_lo
	;; [unrolled: 2-line block ×3, first 2 shown]
	global_load_b64 v[6:7], v[6:7], off
	global_load_b64 v[0:1], v[0:1], off
	global_load_b32 v52, v[8:9], off
	s_waitcnt vmcnt(2)
	v_cmpx_ne_u64_e32 0, v[6:7]
	s_cbranch_execz .LBB1_3
; %bb.2:
	s_load_b64 s[0:1], s[0:1], 0x10
	s_waitcnt vmcnt(1) lgkmcnt(0)
	v_add_co_u32 v1, vcc_lo, s0, v4
	v_add_co_ci_u32_e32 v2, vcc_lo, s1, v5, vcc_lo
	global_load_b32 v1, v[1:2], off
	s_waitcnt vmcnt(0)
	v_add_f32_e32 v52, v52, v1
.LBB1_3:
	s_or_b32 exec_lo, exec_lo, s2
	s_waitcnt vmcnt(1)
	v_mad_u64_u32 v[1:2], null, 0xaa8c0, s15, v[3:4]
	v_add_co_u32 v3, vcc_lo, s6, v4
	v_add_co_ci_u32_e32 v4, vcc_lo, s7, v5, vcc_lo
	s_delay_alu instid0(VALU_DEP_3)
	v_mad_u64_u32 v[8:9], null, 0x221c, v0, v[1:2]
	v_ashrrev_i32_e32 v2, 31, v1
	global_load_b32 v53, v[3:4], off
	v_add_nc_u32_e32 v3, 0x4438, v1
	v_add_nc_u32_e32 v10, 0x221c, v1
	;; [unrolled: 1-line block ×3, first 2 shown]
	v_lshlrev_b64 v[6:7], 2, v[1:2]
	v_add_nc_u32_e32 v2, 0x6654, v1
	v_ashrrev_i32_e32 v4, 31, v3
	v_ashrrev_i32_e32 v9, 31, v8
	;; [unrolled: 1-line block ×4, first 2 shown]
	v_add_co_u32 v12, vcc_lo, s16, v6
	v_lshlrev_b64 v[20:21], 2, v[3:4]
	v_ashrrev_i32_e32 v3, 31, v2
	v_add_nc_u32_e32 v4, 0x8870, v1
	v_lshlrev_b64 v[8:9], 2, v[8:9]
	v_lshlrev_b64 v[10:11], 2, v[10:11]
	v_add_co_ci_u32_e32 v13, vcc_lo, s17, v7, vcc_lo
	v_lshlrev_b64 v[26:27], 2, v[2:3]
	v_add_nc_u32_e32 v2, 0xaa8c, v1
	v_ashrrev_i32_e32 v5, 31, v4
	v_add_co_u32 v8, vcc_lo, s16, v8
	v_add_co_ci_u32_e32 v9, vcc_lo, s17, v9, vcc_lo
	s_delay_alu instid0(VALU_DEP_4) | instskip(NEXT) | instid1(VALU_DEP_4)
	v_ashrrev_i32_e32 v3, 31, v2
	v_lshlrev_b64 v[28:29], 2, v[4:5]
	v_add_nc_u32_e32 v4, 0xcca8, v1
	v_add_co_u32 v14, vcc_lo, s16, v10
	s_delay_alu instid0(VALU_DEP_4) | instskip(SKIP_1) | instid1(VALU_DEP_4)
	v_lshlrev_b64 v[30:31], 2, v[2:3]
	v_add_nc_u32_e32 v2, 0xeec4, v1
	v_ashrrev_i32_e32 v5, 31, v4
	v_add_co_ci_u32_e32 v15, vcc_lo, s17, v11, vcc_lo
	s_clause 0x2
	global_load_b32 v54, v[8:9], off
	global_load_b32 v55, v[12:13], off
	;; [unrolled: 1-line block ×3, first 2 shown]
	v_ashrrev_i32_e32 v3, 31, v2
	v_lshlrev_b64 v[40:41], 2, v[4:5]
	v_add_nc_u32_e32 v4, 0x110e0, v1
	v_add_co_u32 v8, vcc_lo, s16, v20
	s_delay_alu instid0(VALU_DEP_4) | instskip(SKIP_1) | instid1(VALU_DEP_4)
	v_lshlrev_b64 v[42:43], 2, v[2:3]
	v_add_nc_u32_e32 v2, 0x132fc, v1
	v_ashrrev_i32_e32 v5, 31, v4
	v_add_co_ci_u32_e32 v9, vcc_lo, s17, v21, vcc_lo
	v_add_co_u32 v12, vcc_lo, s16, v26
	s_delay_alu instid0(VALU_DEP_4) | instskip(NEXT) | instid1(VALU_DEP_4)
	v_ashrrev_i32_e32 v3, 31, v2
	v_lshlrev_b64 v[44:45], 2, v[4:5]
	v_add_nc_u32_e32 v4, 0x15518, v1
	v_add_co_ci_u32_e32 v13, vcc_lo, s17, v27, vcc_lo
	v_add_co_u32 v14, vcc_lo, s16, v28
	v_lshlrev_b64 v[46:47], 2, v[2:3]
	v_add_nc_u32_e32 v2, 0x17734, v1
	v_add_co_ci_u32_e32 v15, vcc_lo, s17, v29, vcc_lo
	v_add_co_u32 v16, vcc_lo, s16, v30
	v_ashrrev_i32_e32 v5, 31, v4
	v_add_co_ci_u32_e32 v17, vcc_lo, s17, v31, vcc_lo
	v_add_co_u32 v18, vcc_lo, s16, v40
	v_ashrrev_i32_e32 v3, 31, v2
	v_add_co_ci_u32_e32 v19, vcc_lo, s17, v41, vcc_lo
	v_lshlrev_b64 v[48:49], 2, v[4:5]
	v_add_nc_u32_e32 v4, 0x19950, v1
	v_add_co_u32 v22, vcc_lo, s16, v42
	v_add_co_ci_u32_e32 v23, vcc_lo, s17, v43, vcc_lo
	v_lshlrev_b64 v[50:51], 2, v[2:3]
	v_add_nc_u32_e32 v2, 0x1bb6c, v1
	v_add_co_u32 v24, vcc_lo, s16, v44
	v_ashrrev_i32_e32 v5, 31, v4
	v_add_co_ci_u32_e32 v25, vcc_lo, s17, v45, vcc_lo
	v_add_co_u32 v34, vcc_lo, s16, v46
	v_ashrrev_i32_e32 v3, 31, v2
	v_add_co_ci_u32_e32 v35, vcc_lo, s17, v47, vcc_lo
	v_add_co_u32 v36, vcc_lo, s16, v48
	v_lshlrev_b64 v[62:63], 2, v[4:5]
	v_add_co_ci_u32_e32 v37, vcc_lo, s17, v49, vcc_lo
	v_add_co_u32 v4, vcc_lo, s16, v50
	v_lshlrev_b64 v[32:33], 2, v[2:3]
	v_add_co_ci_u32_e32 v5, vcc_lo, s17, v51, vcc_lo
	v_add_co_u32 v2, vcc_lo, s16, v62
	v_add_co_ci_u32_e32 v3, vcc_lo, s17, v63, vcc_lo
	s_delay_alu instid0(VALU_DEP_4)
	v_add_co_u32 v38, vcc_lo, s16, v32
	v_add_co_ci_u32_e32 v39, vcc_lo, s17, v33, vcc_lo
	s_clause 0xb
	global_load_b32 v68, v[22:23], off
	global_load_b32 v69, v[24:25], off
	global_load_b32 v70, v[34:35], off
	global_load_b32 v71, v[36:37], off
	global_load_b32 v72, v[4:5], off
	global_load_b32 v73, v[2:3], off
	global_load_b32 v80, v[38:39], off
	global_load_b32 v74, v[8:9], off
	global_load_b32 v75, v[12:13], off
	global_load_b32 v77, v[14:15], off
	global_load_b32 v78, v[16:17], off
	global_load_b32 v79, v[18:19], off
	v_add_nc_u32_e32 v2, 0x1dd88, v1
	v_add_nc_u32_e32 v8, 0x2aa30, v1
	;; [unrolled: 1-line block ×5, first 2 shown]
	v_ashrrev_i32_e32 v3, 31, v2
	v_ashrrev_i32_e32 v9, 31, v8
	;; [unrolled: 1-line block ×3, first 2 shown]
	v_add_nc_u32_e32 v64, 0x332a0, v1
	v_ashrrev_i32_e32 v61, 31, v60
	v_lshlrev_b64 v[34:35], 2, v[2:3]
	v_lshlrev_b64 v[22:23], 2, v[8:9]
	;; [unrolled: 1-line block ×3, first 2 shown]
	v_ashrrev_i32_e32 v65, 31, v64
	s_delay_alu instid0(VALU_DEP_4) | instskip(SKIP_1) | instid1(VALU_DEP_3)
	v_add_co_u32 v2, vcc_lo, s16, v34
	v_add_co_ci_u32_e32 v3, vcc_lo, s17, v35, vcc_lo
	v_lshlrev_b64 v[4:5], 2, v[64:65]
	global_load_b32 v67, v[2:3], off
	v_add_nc_u32_e32 v2, 0x1ffa4, v1
	s_delay_alu instid0(VALU_DEP_1) | instskip(NEXT) | instid1(VALU_DEP_1)
	v_ashrrev_i32_e32 v3, 31, v2
	v_lshlrev_b64 v[38:39], 2, v[2:3]
	s_delay_alu instid0(VALU_DEP_1) | instskip(NEXT) | instid1(VALU_DEP_2)
	v_add_co_u32 v2, vcc_lo, s16, v38
	v_add_co_ci_u32_e32 v3, vcc_lo, s17, v39, vcc_lo
	global_load_b32 v59, v[2:3], off
	v_add_nc_u32_e32 v2, 0x221c0, v1
	s_delay_alu instid0(VALU_DEP_1) | instskip(NEXT) | instid1(VALU_DEP_1)
	v_ashrrev_i32_e32 v3, 31, v2
	v_lshlrev_b64 v[24:25], 2, v[2:3]
	s_delay_alu instid0(VALU_DEP_1) | instskip(NEXT) | instid1(VALU_DEP_2)
	v_add_co_u32 v2, vcc_lo, s16, v24
	v_add_co_ci_u32_e32 v3, vcc_lo, s17, v25, vcc_lo
	;; [unrolled: 8-line block ×3, first 2 shown]
	global_load_b32 v57, v[2:3], off
	v_add_nc_u32_e32 v2, 0x265f8, v1
	s_delay_alu instid0(VALU_DEP_1) | instskip(NEXT) | instid1(VALU_DEP_1)
	v_ashrrev_i32_e32 v3, 31, v2
	v_lshlrev_b64 v[16:17], 2, v[2:3]
	v_add_nc_u32_e32 v2, 0x31084, v1
	s_delay_alu instid0(VALU_DEP_2) | instskip(NEXT) | instid1(VALU_DEP_3)
	v_add_co_u32 v13, vcc_lo, s16, v16
	v_add_co_ci_u32_e32 v14, vcc_lo, s17, v17, vcc_lo
	s_delay_alu instid0(VALU_DEP_3)
	v_ashrrev_i32_e32 v3, 31, v2
	global_load_b32 v76, v[13:14], off
	v_ashrrev_i32_e32 v13, 31, v12
	v_lshlrev_b64 v[8:9], 2, v[2:3]
	v_lshlrev_b64 v[2:3], 2, v[81:82]
	v_add_co_u32 v81, vcc_lo, s10, v6
	v_add_co_ci_u32_e32 v82, vcc_lo, s11, v7, vcc_lo
	v_add_co_u32 v88, vcc_lo, s10, v10
	v_add_co_ci_u32_e32 v89, vcc_lo, s11, v11, vcc_lo
	;; [unrolled: 2-line block ×11, first 2 shown]
	v_lshlrev_b64 v[14:15], 2, v[12:13]
	v_lshlrev_b64 v[12:13], 2, v[60:61]
	global_load_b32 v61, v[6:7], off
	v_add_co_u32 v6, vcc_lo, s16, v22
	v_add_co_ci_u32_e32 v7, vcc_lo, s17, v23, vcc_lo
	v_add_co_u32 v48, vcc_lo, s10, v48
	v_add_co_ci_u32_e32 v49, vcc_lo, s11, v49, vcc_lo
	;; [unrolled: 2-line block ×4, first 2 shown]
	global_load_b32 v60, v[6:7], off
	v_add_co_u32 v6, vcc_lo, s16, v14
	v_add_co_ci_u32_e32 v7, vcc_lo, s17, v15, vcc_lo
	v_add_co_u32 v10, vcc_lo, s16, v12
	v_add_co_ci_u32_e32 v11, vcc_lo, s17, v13, vcc_lo
	;; [unrolled: 2-line block ×3, first 2 shown]
	s_clause 0x1
	global_load_b32 v66, v[6:7], off
	global_load_b32 v40, v[10:11], off
	v_add_co_u32 v6, vcc_lo, s16, v4
	global_load_b32 v41, v[62:63], off
	v_add_co_ci_u32_e32 v7, vcc_lo, s17, v5, vcc_lo
	s_waitcnt vmcnt(25)
	v_mul_f32_e64 v62, v53, -v52
	v_add_co_u32 v52, vcc_lo, s16, v2
	v_add_co_ci_u32_e32 v53, vcc_lo, s17, v3, vcc_lo
	s_clause 0x1
	global_load_b32 v65, v[6:7], off
	global_load_b32 v64, v[52:53], off
	v_cmp_eq_u32_e32 vcc_lo, 0, v0
	s_waitcnt vmcnt(25)
	v_dual_mul_f32 v63, v62, v54 :: v_dual_mul_f32 v10, 0x3fb8aa3b, v55
	s_waitcnt vmcnt(24)
	v_mul_f32_e32 v11, 0x3fb8aa3b, v56
	s_delay_alu instid0(VALU_DEP_2) | instskip(NEXT) | instid1(VALU_DEP_1)
	v_exp_f32_e32 v55, v10
	v_exp_f32_e32 v56, v11
	s_waitcnt_depctr 0xfff
	v_fma_f32 v52, -v63, v55, v62
	v_mul_f32_e64 v53, v63, -v55
	v_fma_f32 v54, -v63, v56, v62
	v_mul_f32_e64 v55, v63, -v56
	s_delay_alu instid0(VALU_DEP_3)
	v_cndmask_b32_e32 v56, v53, v52, vcc_lo
	v_cmp_eq_u32_e32 vcc_lo, 1, v0
	global_store_b32 v[81:82], v56, off
	s_waitcnt vmcnt(23)
	v_dual_cndmask_b32 v54, v55, v54 :: v_dual_mul_f32 v55, 0x3fb8aa3b, v68
	s_waitcnt vmcnt(21)
	v_dual_mul_f32 v68, 0x3fb8aa3b, v69 :: v_dual_mul_f32 v69, 0x3fb8aa3b, v70
	s_waitcnt vmcnt(19)
	v_dual_mul_f32 v70, 0x3fb8aa3b, v71 :: v_dual_mul_f32 v71, 0x3fb8aa3b, v72
	s_waitcnt vmcnt(18)
	v_mul_f32_e32 v72, 0x3fb8aa3b, v73
	v_exp_f32_e32 v68, v68
	s_waitcnt vmcnt(16)
	v_dual_mul_f32 v73, 0x3fb8aa3b, v80 :: v_dual_mul_f32 v74, 0x3fb8aa3b, v74
	v_exp_f32_e32 v55, v55
	v_exp_f32_e32 v69, v69
	;; [unrolled: 1-line block ×6, first 2 shown]
	s_waitcnt vmcnt(13)
	v_dual_mul_f32 v75, 0x3fb8aa3b, v75 :: v_dual_mul_f32 v78, 0x3fb8aa3b, v78
	v_fma_f32 v80, -v63, v68, v62
	v_mul_f32_e64 v68, v63, -v68
	v_add_nc_u32_e32 v83, 0x376d8, v1
	v_fma_f32 v56, -v63, v55, v62
	v_mul_f32_e64 v55, v63, -v55
	v_fma_f32 v81, -v63, v69, v62
	v_mul_f32_e64 v69, v63, -v69
	v_ashrrev_i32_e32 v84, 31, v83
	v_exp_f32_e32 v75, v75
	v_exp_f32_e32 v78, v78
	;; [unrolled: 1-line block ×3, first 2 shown]
	s_delay_alu instid0(VALU_DEP_1) | instskip(NEXT) | instid1(VALU_DEP_1)
	v_lshlrev_b64 v[10:11], 2, v[83:84]
	v_add_co_u32 v52, vcc_lo, s16, v10
	s_delay_alu instid0(VALU_DEP_2)
	v_add_co_ci_u32_e32 v53, vcc_lo, s17, v11, vcc_lo
	v_cmp_eq_u32_e32 vcc_lo, 7, v0
	v_cndmask_b32_e32 v55, v55, v56, vcc_lo
	v_cmp_eq_u32_e32 vcc_lo, 8, v0
	v_fma_f32 v56, -v63, v70, v62
	v_mul_f32_e64 v70, v63, -v70
	v_cndmask_b32_e32 v80, v68, v80, vcc_lo
	v_cmp_eq_u32_e32 vcc_lo, 9, v0
	v_fma_f32 v68, -v63, v71, v62
	v_mul_f32_e64 v71, v63, -v71
	v_cndmask_b32_e32 v81, v69, v81, vcc_lo
	v_cmp_eq_u32_e32 vcc_lo, 10, v0
	v_add_nc_u32_e32 v85, 0x398f4, v1
	v_fma_f32 v69, -v63, v72, v62
	v_mul_f32_e64 v72, v63, -v72
	v_cndmask_b32_e32 v56, v70, v56, vcc_lo
	v_cmp_eq_u32_e32 vcc_lo, 11, v0
	v_add_nc_u32_e32 v87, 0x3bb10, v1
	v_ashrrev_i32_e32 v86, 31, v85
	v_fma_f32 v70, -v63, v73, v62
	v_mul_f32_e64 v73, v63, -v73
	v_cndmask_b32_e32 v82, v71, v68, vcc_lo
	v_cmp_eq_u32_e32 vcc_lo, 12, v0
	v_fma_f32 v68, -v63, v74, v62
	v_mul_f32_e64 v71, v63, -v74
	v_lshlrev_b64 v[6:7], 2, v[85:86]
	v_cndmask_b32_e32 v83, v72, v69, vcc_lo
	v_cmp_eq_u32_e32 vcc_lo, 2, v0
	v_mul_f32_e32 v77, 0x3fb8aa3b, v77
	v_fma_f32 v69, -v63, v75, v62
	v_mul_f32_e64 v72, v63, -v75
	v_mul_f32_e64 v75, v63, -v78
	v_cndmask_b32_e32 v68, v71, v68, vcc_lo
	v_exp_f32_e32 v77, v77
	v_cmp_eq_u32_e32 vcc_lo, 3, v0
	v_cndmask_b32_e32 v69, v72, v69, vcc_lo
	v_cmp_eq_u32_e32 vcc_lo, 4, v0
	v_fma_f32 v72, -v63, v78, v62
	s_waitcnt_depctr 0xfff
	v_fma_f32 v71, -v63, v77, v62
	v_mul_f32_e64 v74, v63, -v77
	s_delay_alu instid0(VALU_DEP_1) | instskip(SKIP_3) | instid1(VALU_DEP_1)
	v_cndmask_b32_e32 v71, v74, v71, vcc_lo
	v_cmp_eq_u32_e32 vcc_lo, 5, v0
	s_waitcnt vmcnt(12)
	v_dual_mul_f32 v79, 0x3fb8aa3b, v79 :: v_dual_cndmask_b32 v72, v75, v72
	v_exp_f32_e32 v79, v79
	v_cmp_eq_u32_e32 vcc_lo, 6, v0
	s_waitcnt_depctr 0xfff
	v_fma_f32 v74, -v63, v79, v62
	v_mul_f32_e64 v77, v63, -v79
	s_delay_alu instid0(VALU_DEP_1)
	v_cndmask_b32_e32 v74, v77, v74, vcc_lo
	s_clause 0x6
	global_store_b32 v[88:89], v54, off
	global_store_b32 v[20:21], v68, off
	;; [unrolled: 1-line block ×7, first 2 shown]
	v_ashrrev_i32_e32 v88, 31, v87
	v_add_co_u32 v26, vcc_lo, s16, v6
	v_add_co_ci_u32_e32 v27, vcc_lo, s17, v7, vcc_lo
	s_delay_alu instid0(VALU_DEP_3)
	v_lshlrev_b64 v[20:21], 2, v[87:88]
	s_waitcnt vmcnt(11)
	v_mul_f32_e32 v28, 0x3fb8aa3b, v67
	v_cmp_eq_u32_e32 vcc_lo, 13, v0
	s_clause 0x1
	global_load_b32 v68, v[52:53], off
	global_load_b32 v67, v[26:27], off
	v_add_nc_u32_e32 v30, 0x3ff48, v1
	v_exp_f32_e32 v54, v28
	v_cndmask_b32_e32 v75, v73, v70, vcc_lo
	v_add_co_u32 v28, vcc_lo, s16, v20
	v_add_co_ci_u32_e32 v29, vcc_lo, s17, v21, vcc_lo
	v_ashrrev_i32_e32 v31, 31, v30
	v_add_co_u32 v42, vcc_lo, s10, v32
	global_load_b32 v69, v[28:29], off
	v_add_nc_u32_e32 v26, 0x3dd2c, v1
	v_add_nc_u32_e32 v28, 0x42164, v1
	v_add_co_ci_u32_e32 v43, vcc_lo, s11, v33, vcc_lo
	v_lshlrev_b64 v[32:33], 2, v[30:31]
	s_delay_alu instid0(VALU_DEP_4) | instskip(NEXT) | instid1(VALU_DEP_4)
	v_ashrrev_i32_e32 v27, 31, v26
	v_ashrrev_i32_e32 v29, 31, v28
	s_waitcnt vmcnt(13)
	v_mul_f32_e32 v55, 0x3fb8aa3b, v59
	v_fma_f32 v70, -v63, v54, v62
	v_mul_f32_e64 v59, v63, -v54
	v_lshlrev_b64 v[26:27], 2, v[26:27]
	v_lshlrev_b64 v[28:29], 2, v[28:29]
	v_exp_f32_e32 v73, v55
	s_delay_alu instid0(VALU_DEP_2) | instskip(NEXT) | instid1(VALU_DEP_3)
	v_add_co_u32 v52, vcc_lo, s16, v26
	v_add_co_ci_u32_e32 v53, vcc_lo, s17, v27, vcc_lo
	v_add_co_u32 v30, vcc_lo, s16, v32
	v_add_co_ci_u32_e32 v31, vcc_lo, s17, v33, vcc_lo
	;; [unrolled: 2-line block ×3, first 2 shown]
	v_cmp_eq_u32_e32 vcc_lo, 14, v0
	global_load_b32 v71, v[52:53], off
	v_mul_f32_e64 v78, v63, -v73
	v_cndmask_b32_e32 v77, v59, v70, vcc_lo
	s_clause 0x1
	global_load_b32 v70, v[54:55], off
	global_load_b32 v72, v[30:31], off
	v_add_nc_u32_e32 v52, 0x44380, v1
	v_add_co_u32 v54, vcc_lo, s10, v34
	v_add_co_ci_u32_e32 v55, vcc_lo, s11, v35, vcc_lo
	s_delay_alu instid0(VALU_DEP_3) | instskip(SKIP_1) | instid1(VALU_DEP_2)
	v_ashrrev_i32_e32 v53, 31, v52
	v_fma_f32 v59, -v63, v73, v62
	v_lshlrev_b64 v[30:31], 2, v[52:53]
	v_add_nc_u32_e32 v52, 0x4659c, v1
	s_delay_alu instid0(VALU_DEP_1) | instskip(NEXT) | instid1(VALU_DEP_3)
	v_ashrrev_i32_e32 v53, 31, v52
	v_add_co_u32 v73, vcc_lo, s16, v30
	s_delay_alu instid0(VALU_DEP_4) | instskip(NEXT) | instid1(VALU_DEP_3)
	v_add_co_ci_u32_e32 v74, vcc_lo, s17, v31, vcc_lo
	v_lshlrev_b64 v[34:35], 2, v[52:53]
	v_cmp_eq_u32_e32 vcc_lo, 15, v0
	s_waitcnt vmcnt(11)
	v_mul_f32_e32 v60, 0x3fb8aa3b, v60
	global_load_b32 v73, v[73:74], off
	v_cndmask_b32_e32 v78, v78, v59, vcc_lo
	v_add_co_u32 v52, vcc_lo, s16, v34
	v_mul_f32_e32 v59, 0x3fb8aa3b, v58
	v_add_co_ci_u32_e32 v53, vcc_lo, s17, v35, vcc_lo
	v_add_nc_u32_e32 v58, 0x487b8, v1
	v_add_co_u32 v38, vcc_lo, s10, v38
	v_add_co_ci_u32_e32 v39, vcc_lo, s11, v39, vcc_lo
	global_load_b32 v74, v[52:53], off
	s_clause 0x7
	global_store_b32 v[44:45], v80, off
	global_store_b32 v[46:47], v81, off
	;; [unrolled: 1-line block ×8, first 2 shown]
	v_mul_f32_e32 v54, 0x3fb8aa3b, v76
	v_exp_f32_e32 v79, v59
	v_ashrrev_i32_e32 v59, 31, v58
	v_add_nc_u32_e32 v42, 0x4a9d4, v1
	v_mul_f32_e32 v48, 0x3fb8aa3b, v57
	v_add_nc_u32_e32 v50, 0x4ee0c, v1
	v_exp_f32_e32 v56, v54
	v_lshlrev_b64 v[38:39], 2, v[58:59]
	v_ashrrev_i32_e32 v43, 31, v42
	v_exp_f32_e32 v51, v48
	v_add_nc_u32_e32 v54, 0x53244, v1
	v_fma_f32 v46, -v63, v79, v62
	v_mul_f32_e64 v47, v63, -v79
	v_add_co_u32 v44, vcc_lo, s16, v38
	v_add_co_ci_u32_e32 v45, vcc_lo, s17, v39, vcc_lo
	v_cmp_eq_u32_e32 vcc_lo, 16, v0
	v_lshlrev_b64 v[42:43], 2, v[42:43]
	s_delay_alu instid0(TRANS32_DEP_1)
	v_fma_f32 v52, -v63, v51, v62
	global_load_b32 v75, v[44:45], off
	v_mul_f32_e64 v53, v63, -v51
	v_cndmask_b32_e32 v55, v47, v46, vcc_lo
	v_add_co_u32 v46, vcc_lo, s10, v24
	v_add_co_ci_u32_e32 v47, vcc_lo, s11, v25, vcc_lo
	v_add_co_u32 v48, vcc_lo, s16, v42
	v_add_co_ci_u32_e32 v49, vcc_lo, s17, v43, vcc_lo
	v_ashrrev_i32_e32 v51, 31, v50
	global_store_b32 v[46:47], v55, off
	v_ashrrev_i32_e32 v55, 31, v54
	global_load_b32 v77, v[48:49], off
	v_add_nc_u32_e32 v44, 0x4cbf0, v1
	v_fma_f32 v57, -v63, v56, v62
	v_mul_f32_e64 v56, v63, -v56
	v_mul_f32_e32 v58, 0x3fb8aa3b, v61
	s_waitcnt vmcnt(11)
	v_mul_f32_e32 v65, 0x3fb8aa3b, v65
	v_ashrrev_i32_e32 v45, 31, v44
	v_mul_f32_e32 v66, 0x3fb8aa3b, v66
	s_waitcnt vmcnt(10)
	v_mul_f32_e32 v64, 0x3fb8aa3b, v64
	v_exp_f32_e32 v61, v58
	v_exp_f32_e32 v65, v65
	v_lshlrev_b64 v[24:25], 2, v[44:45]
	v_lshlrev_b64 v[44:45], 2, v[50:51]
	v_exp_f32_e32 v66, v66
	s_delay_alu instid0(VALU_DEP_2) | instskip(NEXT) | instid1(VALU_DEP_3)
	v_add_co_u32 v48, vcc_lo, s16, v24
	v_add_co_ci_u32_e32 v49, vcc_lo, s17, v25, vcc_lo
	v_cmp_eq_u32_e32 vcc_lo, 17, v0
	s_delay_alu instid0(TRANS32_DEP_3)
	v_fma_f32 v87, -v63, v61, v62
	v_mul_f32_e64 v61, v63, -v61
	global_load_b32 v76, v[48:49], off
	v_dual_cndmask_b32 v85, v53, v52 :: v_dual_add_nc_u32 v48, 0x51028, v1
	v_add_co_u32 v50, vcc_lo, s16, v44
	v_add_co_ci_u32_e32 v51, vcc_lo, s17, v45, vcc_lo
	s_delay_alu instid0(VALU_DEP_3) | instskip(SKIP_2) | instid1(VALU_DEP_3)
	v_ashrrev_i32_e32 v49, 31, v48
	v_add_co_u32 v52, vcc_lo, s10, v18
	v_add_co_ci_u32_e32 v53, vcc_lo, s11, v19, vcc_lo
	v_lshlrev_b64 v[18:19], 2, v[48:49]
	v_lshlrev_b64 v[48:49], 2, v[54:55]
	global_load_b32 v78, v[50:51], off
	v_add_co_u32 v46, vcc_lo, s16, v18
	v_add_co_ci_u32_e32 v47, vcc_lo, s17, v19, vcc_lo
	v_add_co_u32 v54, vcc_lo, s16, v48
	v_add_co_ci_u32_e32 v55, vcc_lo, s17, v49, vcc_lo
	v_cmp_eq_u32_e32 vcc_lo, 18, v0
	s_clause 0x1
	global_load_b32 v80, v[54:55], off
	global_load_b32 v79, v[46:47], off
	v_add_nc_u32_e32 v50, 0x55460, v1
	v_cndmask_b32_e32 v86, v56, v57, vcc_lo
	v_add_nc_u32_e32 v56, 0x59898, v1
	s_delay_alu instid0(VALU_DEP_3) | instskip(NEXT) | instid1(VALU_DEP_2)
	v_ashrrev_i32_e32 v51, 31, v50
	v_ashrrev_i32_e32 v57, 31, v56
	s_delay_alu instid0(VALU_DEP_2) | instskip(SKIP_1) | instid1(VALU_DEP_3)
	v_lshlrev_b64 v[46:47], 2, v[50:51]
	v_add_nc_u32_e32 v50, 0x5767c, v1
	v_lshlrev_b64 v[58:59], 2, v[56:57]
	s_delay_alu instid0(VALU_DEP_2) | instskip(NEXT) | instid1(VALU_DEP_4)
	v_ashrrev_i32_e32 v51, 31, v50
	v_add_co_u32 v54, vcc_lo, s16, v46
	v_add_co_ci_u32_e32 v55, vcc_lo, s17, v47, vcc_lo
	s_delay_alu instid0(VALU_DEP_3)
	v_lshlrev_b64 v[50:51], 2, v[50:51]
	v_add_co_u32 v16, vcc_lo, s10, v16
	v_add_co_ci_u32_e32 v17, vcc_lo, s11, v17, vcc_lo
	global_load_b32 v81, v[54:55], off
	v_add_co_u32 v54, vcc_lo, s16, v50
	v_add_co_ci_u32_e32 v55, vcc_lo, s17, v51, vcc_lo
	v_add_co_u32 v56, vcc_lo, s16, v58
	v_add_co_ci_u32_e32 v57, vcc_lo, s17, v59, vcc_lo
	v_cmp_eq_u32_e32 vcc_lo, 19, v0
	global_load_b32 v82, v[54:55], off
	v_cndmask_b32_e32 v87, v61, v87, vcc_lo
	v_exp_f32_e32 v61, v60
	v_add_nc_u32_e32 v60, 0x5dcd0, v1
	s_waitcnt_depctr 0xfff
	v_fma_f32 v88, -v63, v61, v62
	v_mul_f32_e64 v89, v63, -v61
	v_add_nc_u32_e32 v83, 0x5bab4, v1
	v_ashrrev_i32_e32 v61, 31, v60
	s_delay_alu instid0(VALU_DEP_2) | instskip(NEXT) | instid1(VALU_DEP_1)
	v_ashrrev_i32_e32 v84, 31, v83
	v_lshlrev_b64 v[54:55], 2, v[83:84]
	global_load_b32 v83, v[56:57], off
	v_add_nc_u32_e32 v84, 0x5feec, v1
	v_add_co_u32 v56, vcc_lo, s16, v54
	v_add_co_ci_u32_e32 v57, vcc_lo, s17, v55, vcc_lo
	v_add_co_u32 v36, vcc_lo, s10, v36
	v_add_co_ci_u32_e32 v37, vcc_lo, s11, v37, vcc_lo
	global_load_b32 v90, v[56:57], off
	v_lshlrev_b64 v[56:57], 2, v[60:61]
	v_cmp_eq_u32_e32 vcc_lo, 20, v0
	s_clause 0x1
	global_store_b32 v[52:53], v85, off
	global_store_b32 v[16:17], v86, off
	v_add_nc_u32_e32 v16, 0x62108, v1
	v_ashrrev_i32_e32 v85, 31, v84
	v_cndmask_b32_e32 v86, v89, v88, vcc_lo
	v_add_co_u32 v52, vcc_lo, s16, v56
	v_add_co_ci_u32_e32 v53, vcc_lo, s17, v57, vcc_lo
	v_ashrrev_i32_e32 v17, 31, v16
	v_lshlrev_b64 v[60:61], 2, v[84:85]
	v_add_co_u32 v84, vcc_lo, s10, v22
	global_load_b32 v88, v[52:53], off
	v_lshlrev_b64 v[52:53], 2, v[16:17]
	v_add_co_ci_u32_e32 v85, vcc_lo, s11, v23, vcc_lo
	v_add_co_u32 v16, vcc_lo, s16, v60
	v_add_co_ci_u32_e32 v17, vcc_lo, s17, v61, vcc_lo
	s_delay_alu instid0(VALU_DEP_4)
	v_add_co_u32 v22, vcc_lo, s16, v52
	v_add_co_ci_u32_e32 v23, vcc_lo, s17, v53, vcc_lo
	s_clause 0x1
	global_load_b32 v89, v[16:17], off
	global_load_b32 v91, v[22:23], off
	v_add_nc_u32_e32 v16, 0x64324, v1
	s_clause 0x1
	global_store_b32 v[36:37], v87, off
	global_store_b32 v[84:85], v86, off
	v_fma_f32 v36, -v63, v66, v62
	v_mul_f32_e64 v37, v63, -v66
	v_ashrrev_i32_e32 v17, 31, v16
	v_mul_f32_e32 v66, 0x3fb8aa3b, v41
	s_delay_alu instid0(VALU_DEP_2) | instskip(NEXT) | instid1(VALU_DEP_2)
	v_lshlrev_b64 v[22:23], 2, v[16:17]
	v_exp_f32_e32 v66, v66
	s_delay_alu instid0(VALU_DEP_1) | instskip(NEXT) | instid1(VALU_DEP_2)
	v_add_co_u32 v16, vcc_lo, s16, v22
	v_add_co_ci_u32_e32 v17, vcc_lo, s17, v23, vcc_lo
	v_cmp_eq_u32_e32 vcc_lo, 21, v0
	global_load_b32 v87, v[16:17], off
	v_add_nc_u32_e32 v16, 0x66540, v1
	v_cndmask_b32_e32 v36, v37, v36, vcc_lo
	v_mul_f32_e32 v37, 0x3fb8aa3b, v40
	v_add_co_u32 v14, vcc_lo, s10, v14
	s_delay_alu instid0(VALU_DEP_4) | instskip(SKIP_1) | instid1(VALU_DEP_4)
	v_ashrrev_i32_e32 v17, 31, v16
	v_add_co_ci_u32_e32 v15, vcc_lo, s11, v15, vcc_lo
	v_exp_f32_e32 v37, v37
	v_add_co_u32 v12, vcc_lo, s10, v12
	s_delay_alu instid0(VALU_DEP_3) | instskip(SKIP_1) | instid1(VALU_DEP_2)
	v_lshlrev_b64 v[40:41], 2, v[16:17]
	v_add_co_ci_u32_e32 v13, vcc_lo, s11, v13, vcc_lo
	v_add_co_u32 v16, vcc_lo, s16, v40
	s_delay_alu instid0(VALU_DEP_3)
	v_add_co_ci_u32_e32 v17, vcc_lo, s17, v41, vcc_lo
	v_cmp_eq_u32_e32 vcc_lo, 22, v0
	global_load_b32 v84, v[16:17], off
	v_fma_f32 v16, -v63, v37, v62
	v_mul_f32_e64 v17, v63, -v37
	v_fma_f32 v37, -v63, v66, v62
	v_mul_f32_e64 v66, v63, -v66
	s_delay_alu instid0(VALU_DEP_3) | instskip(SKIP_1) | instid1(VALU_DEP_3)
	v_cndmask_b32_e32 v16, v17, v16, vcc_lo
	v_cmp_eq_u32_e32 vcc_lo, 23, v0
	v_cndmask_b32_e32 v17, v66, v37, vcc_lo
	v_add_co_u32 v8, vcc_lo, s10, v8
	v_add_co_ci_u32_e32 v9, vcc_lo, s11, v9, vcc_lo
	s_clause 0x2
	global_store_b32 v[14:15], v36, off
	global_store_b32 v[12:13], v16, off
	;; [unrolled: 1-line block ×3, first 2 shown]
	s_waitcnt vmcnt(20)
	v_mul_f32_e32 v15, 0x3fb8aa3b, v69
	v_exp_f32_e32 v37, v64
	v_fma_f32 v64, -v63, v65, v62
	v_mul_f32_e64 v65, v63, -v65
	v_cmp_eq_u32_e32 vcc_lo, 24, v0
	v_add_nc_u32_e32 v8, 0x6875c, v1
	v_mul_f32_e32 v13, 0x3fb8aa3b, v68
	s_delay_alu instid0(VALU_DEP_4) | instskip(SKIP_2) | instid1(TRANS32_DEP_1)
	v_cndmask_b32_e32 v64, v65, v64, vcc_lo
	v_add_co_u32 v4, vcc_lo, s10, v4
	v_add_co_ci_u32_e32 v5, vcc_lo, s11, v5, vcc_lo
	v_fma_f32 v9, -v63, v37, v62
	v_mul_f32_e64 v12, v63, -v37
	v_cmp_eq_u32_e32 vcc_lo, 25, v0
	v_exp_f32_e32 v13, v13
	s_waitcnt vmcnt(18)
	s_delay_alu instid0(VALU_DEP_2) | instskip(SKIP_3) | instid1(VALU_DEP_3)
	v_dual_mul_f32 v70, 0x3fb8aa3b, v70 :: v_dual_cndmask_b32 v65, v12, v9
	v_ashrrev_i32_e32 v9, 31, v8
	v_add_co_u32 v2, vcc_lo, s10, v2
	v_add_co_ci_u32_e32 v3, vcc_lo, s11, v3, vcc_lo
	v_lshlrev_b64 v[36:37], 2, v[8:9]
	v_mul_f32_e32 v12, 0x3fb8aa3b, v67
	s_delay_alu instid0(TRANS32_DEP_1) | instskip(SKIP_1) | instid1(VALU_DEP_4)
	v_fma_f32 v14, -v63, v13, v62
	v_mul_f32_e64 v13, v63, -v13
	v_add_co_u32 v8, vcc_lo, s16, v36
	v_add_co_ci_u32_e32 v9, vcc_lo, s17, v37, vcc_lo
	v_cmp_eq_u32_e32 vcc_lo, 26, v0
	global_load_b32 v67, v[8:9], off
	v_cndmask_b32_e32 v68, v13, v14, vcc_lo
	v_exp_f32_e32 v14, v15
	s_waitcnt vmcnt(18)
	v_mul_f32_e32 v15, 0x3fb8aa3b, v72
	v_exp_f32_e32 v12, v12
	v_add_co_u32 v8, vcc_lo, s10, v10
	v_add_co_ci_u32_e32 v9, vcc_lo, s11, v11, vcc_lo
	v_mul_f32_e32 v11, 0x3fb8aa3b, v71
	v_add_nc_u32_e32 v10, 0x6a978, v1
	v_cmp_eq_u32_e32 vcc_lo, 27, v0
	v_exp_f32_e32 v15, v15
	s_delay_alu instid0(TRANS32_DEP_2) | instskip(SKIP_1) | instid1(VALU_DEP_1)
	v_fma_f32 v13, -v63, v12, v62
	v_mul_f32_e64 v12, v63, -v12
	v_cndmask_b32_e32 v69, v12, v13, vcc_lo
	v_fma_f32 v12, -v63, v14, v62
	v_mul_f32_e64 v13, v63, -v14
	v_exp_f32_e32 v14, v11
	v_ashrrev_i32_e32 v11, 31, v10
	v_add_co_u32 v6, vcc_lo, s10, v6
	v_add_co_ci_u32_e32 v7, vcc_lo, s11, v7, vcc_lo
	s_delay_alu instid0(VALU_DEP_3)
	v_lshlrev_b64 v[16:17], 2, v[10:11]
	v_cmp_eq_u32_e32 vcc_lo, 28, v0
	s_waitcnt_depctr 0xfff
	v_fma_f32 v72, -v63, v14, v62
	v_mul_f32_e64 v14, v63, -v14
	v_cndmask_b32_e32 v71, v13, v12, vcc_lo
	v_add_co_u32 v10, vcc_lo, s16, v16
	v_add_co_ci_u32_e32 v11, vcc_lo, s17, v17, vcc_lo
	v_add_co_u32 v12, vcc_lo, s10, v20
	v_add_co_ci_u32_e32 v13, vcc_lo, s11, v21, vcc_lo
	v_cmp_eq_u32_e32 vcc_lo, 29, v0
	global_load_b32 v66, v[10:11], off
	v_fma_f32 v20, -v63, v15, v62
	v_mul_f32_e64 v15, v63, -v15
	s_waitcnt vmcnt(18)
	v_dual_mul_f32 v21, 0x3fb8aa3b, v73 :: v_dual_cndmask_b32 v72, v14, v72
	v_exp_f32_e32 v14, v70
	v_add_co_u32 v10, vcc_lo, s10, v26
	v_add_co_ci_u32_e32 v11, vcc_lo, s11, v27, vcc_lo
	v_cmp_eq_u32_e32 vcc_lo, 30, v0
	v_exp_f32_e32 v21, v21
	v_cndmask_b32_e32 v70, v15, v20, vcc_lo
	s_waitcnt_depctr 0xfff
	v_fma_f32 v20, -v63, v14, v62
	v_mul_f32_e64 v26, v63, -v14
	v_add_co_u32 v14, vcc_lo, s10, v32
	v_add_co_ci_u32_e32 v15, vcc_lo, s11, v33, vcc_lo
	v_cmp_eq_u32_e32 vcc_lo, 31, v0
	s_waitcnt vmcnt(17)
	v_dual_mul_f32 v33, 0x3fb8aa3b, v74 :: v_dual_cndmask_b32 v32, v26, v20
	v_add_nc_u32_e32 v20, 0x6cb94, v1
	v_add_co_u32 v26, vcc_lo, s10, v28
	v_add_co_ci_u32_e32 v27, vcc_lo, s11, v29, vcc_lo
	v_fma_f32 v28, -v63, v21, v62
	v_mul_f32_e64 v29, v63, -v21
	v_ashrrev_i32_e32 v21, 31, v20
	s_clause 0x7
	global_store_b32 v[4:5], v64, off
	global_store_b32 v[2:3], v65, off
	;; [unrolled: 1-line block ×8, first 2 shown]
	s_waitcnt vmcnt(16)
	v_mul_f32_e32 v2, 0x3fb8aa3b, v75
	v_cmp_eq_u32_e32 vcc_lo, 32, v0
	v_exp_f32_e32 v33, v33
	v_lshlrev_b64 v[4:5], 2, v[20:21]
	s_waitcnt vmcnt(15)
	v_mul_f32_e32 v11, 0x3fb8aa3b, v77
	v_exp_f32_e32 v10, v2
	v_cndmask_b32_e32 v26, v29, v28, vcc_lo
	s_waitcnt vmcnt(13)
	v_dual_mul_f32 v12, 0x3fb8aa3b, v76 :: v_dual_mul_f32 v15, 0x3fb8aa3b, v78
	v_add_co_u32 v2, vcc_lo, s16, v4
	v_add_co_ci_u32_e32 v3, vcc_lo, s17, v5, vcc_lo
	v_add_co_u32 v6, vcc_lo, s10, v30
	v_add_co_ci_u32_e32 v7, vcc_lo, s11, v31, vcc_lo
	global_load_b32 v65, v[2:3], off
	v_fma_f32 v8, -v63, v33, v62
	v_mul_f32_e64 v9, v63, -v33
	v_cmp_eq_u32_e32 vcc_lo, 33, v0
	v_fma_f32 v3, -v63, v10, v62
	v_exp_f32_e32 v11, v11
	v_mul_f32_e64 v10, v63, -v10
	v_dual_cndmask_b32 v27, v9, v8 :: v_dual_add_nc_u32 v2, 0x6edb0, v1
	v_add_co_u32 v8, vcc_lo, s10, v34
	v_add_co_ci_u32_e32 v9, vcc_lo, s11, v35, vcc_lo
	v_cmp_eq_u32_e32 vcc_lo, 34, v0
	v_exp_f32_e32 v12, v12
	s_delay_alu instid0(TRANS32_DEP_2)
	v_fma_f32 v13, -v63, v11, v62
	v_mul_f32_e64 v14, v63, -v11
	v_exp_f32_e32 v30, v15
	v_cndmask_b32_e32 v28, v10, v3, vcc_lo
	v_ashrrev_i32_e32 v3, 31, v2
	v_add_co_u32 v10, vcc_lo, s10, v38
	v_add_co_ci_u32_e32 v11, vcc_lo, s11, v39, vcc_lo
	s_delay_alu instid0(VALU_DEP_3)
	v_lshlrev_b64 v[2:3], 2, v[2:3]
	v_cmp_eq_u32_e32 vcc_lo, 35, v0
	v_fma_f32 v20, -v63, v12, v62
	v_mul_f32_e64 v21, v63, -v12
	s_waitcnt vmcnt(12)
	v_mul_f32_e32 v31, 0x3fb8aa3b, v79
	v_add_nc_u32_e32 v78, 0xa6488, v1
	v_cndmask_b32_e32 v29, v14, v13, vcc_lo
	v_add_co_u32 v12, vcc_lo, s16, v2
	v_add_co_ci_u32_e32 v13, vcc_lo, s17, v3, vcc_lo
	v_add_co_u32 v14, vcc_lo, s10, v42
	v_add_co_ci_u32_e32 v15, vcc_lo, s11, v43, vcc_lo
	global_load_b32 v64, v[12:13], off
	s_waitcnt vmcnt(11)
	v_mul_f32_e32 v35, 0x3fb8aa3b, v82
	v_cmp_eq_u32_e32 vcc_lo, 36, v0
	v_mul_f32_e32 v33, 0x3fb8aa3b, v81
	s_delay_alu instid0(VALU_DEP_3)
	v_exp_f32_e32 v35, v35
	v_cndmask_b32_e32 v32, v21, v20, vcc_lo
	v_exp_f32_e32 v21, v31
	v_add_co_u32 v12, vcc_lo, s10, v24
	v_add_co_ci_u32_e32 v13, vcc_lo, s11, v25, vcc_lo
	v_fma_f32 v20, -v63, v30, v62
	v_mul_f32_e64 v30, v63, -v30
	v_cmp_eq_u32_e32 vcc_lo, 37, v0
	v_mul_f32_e32 v31, 0x3fb8aa3b, v80
	v_exp_f32_e32 v33, v33
	s_delay_alu instid0(TRANS32_DEP_2)
	v_fma_f32 v25, -v63, v21, v62
	v_cndmask_b32_e32 v30, v30, v20, vcc_lo
	v_add_co_u32 v20, vcc_lo, s10, v44
	v_exp_f32_e32 v24, v31
	v_mul_f32_e64 v31, v63, -v21
	v_add_co_ci_u32_e32 v21, vcc_lo, s11, v45, vcc_lo
	v_cmp_eq_u32_e32 vcc_lo, 38, v0
	s_delay_alu instid0(TRANS32_DEP_2)
	v_fma_f32 v38, -v63, v33, v62
	v_mul_f32_e64 v33, v63, -v33
	s_waitcnt vmcnt(10)
	v_mul_f32_e32 v39, 0x3fb8aa3b, v83
	v_cndmask_b32_e32 v31, v31, v25, vcc_lo
	v_add_co_u32 v18, vcc_lo, s10, v18
	v_add_co_ci_u32_e32 v19, vcc_lo, s11, v19, vcc_lo
	v_fma_f32 v25, -v63, v24, v62
	v_mul_f32_e64 v24, v63, -v24
	v_cmp_eq_u32_e32 vcc_lo, 39, v0
	s_delay_alu instid0(VALU_DEP_2)
	v_cndmask_b32_e32 v34, v24, v25, vcc_lo
	v_add_co_u32 v24, vcc_lo, s10, v48
	v_add_co_ci_u32_e32 v25, vcc_lo, s11, v49, vcc_lo
	v_cmp_eq_u32_e32 vcc_lo, 40, v0
	s_clause 0x7
	global_store_b32 v[6:7], v26, off
	global_store_b32 v[8:9], v27, off
	;; [unrolled: 1-line block ×8, first 2 shown]
	v_exp_f32_e32 v7, v39
	v_fma_f32 v6, -v63, v35, v62
	v_mul_f32_e64 v8, v63, -v35
	v_cndmask_b32_e32 v48, v33, v38, vcc_lo
	v_add_co_u32 v18, vcc_lo, s10, v46
	v_add_co_ci_u32_e32 v19, vcc_lo, s11, v47, vcc_lo
	v_cmp_eq_u32_e32 vcc_lo, 41, v0
	s_waitcnt vmcnt(9)
	v_mul_f32_e32 v9, 0x3fb8aa3b, v90
	v_cndmask_b32_e32 v49, v8, v6, vcc_lo
	v_add_co_u32 v20, vcc_lo, s10, v50
	s_delay_alu instid0(VALU_DEP_3)
	v_exp_f32_e32 v9, v9
	v_add_co_ci_u32_e32 v21, vcc_lo, s11, v51, vcc_lo
	v_fma_f32 v6, -v63, v7, v62
	v_mul_f32_e64 v7, v63, -v7
	v_cmp_eq_u32_e32 vcc_lo, 42, v0
	s_waitcnt vmcnt(8)
	v_mul_f32_e32 v8, 0x3fb8aa3b, v88
	s_waitcnt vmcnt(6)
	v_dual_mul_f32 v14, 0x3fb8aa3b, v89 :: v_dual_mul_f32 v15, 0x3fb8aa3b, v91
	v_cndmask_b32_e32 v50, v7, v6, vcc_lo
	v_add_co_u32 v24, vcc_lo, s10, v58
	v_add_co_ci_u32_e32 v25, vcc_lo, s11, v59, vcc_lo
	v_fma_f32 v6, -v63, v9, v62
	v_mul_f32_e64 v7, v63, -v9
	v_cmp_eq_u32_e32 vcc_lo, 43, v0
	v_exp_f32_e32 v9, v8
	v_add_nc_u32_e32 v8, 0x731e8, v1
	v_exp_f32_e32 v14, v14
	v_exp_f32_e32 v15, v15
	v_dual_cndmask_b32 v51, v7, v6 :: v_dual_add_nc_u32 v6, 0x70fcc, v1
	v_add_co_u32 v26, vcc_lo, s10, v54
	v_add_co_ci_u32_e32 v27, vcc_lo, s11, v55, vcc_lo
	s_delay_alu instid0(VALU_DEP_3) | instskip(NEXT) | instid1(TRANS32_DEP_3)
	v_ashrrev_i32_e32 v7, 31, v6
	v_fma_f32 v12, -v63, v9, v62
	v_mul_f32_e64 v13, v63, -v9
	v_ashrrev_i32_e32 v9, 31, v8
	v_cmp_eq_u32_e32 vcc_lo, 44, v0
	v_lshlrev_b64 v[10:11], 2, v[6:7]
	v_fma_f32 v30, -v63, v14, v62
	v_mul_f32_e64 v14, v63, -v14
	v_lshlrev_b64 v[8:9], 2, v[8:9]
	v_cndmask_b32_e32 v54, v13, v12, vcc_lo
	v_add_co_u32 v6, vcc_lo, s16, v10
	v_add_co_ci_u32_e32 v7, vcc_lo, s17, v11, vcc_lo
	s_delay_alu instid0(VALU_DEP_4)
	v_add_co_u32 v12, vcc_lo, s16, v8
	v_add_co_ci_u32_e32 v13, vcc_lo, s17, v9, vcc_lo
	v_add_co_u32 v28, vcc_lo, s10, v56
	v_add_co_ci_u32_e32 v29, vcc_lo, s11, v57, vcc_lo
	s_clause 0x1
	global_load_b32 v44, v[6:7], off
	global_load_b32 v45, v[12:13], off
	s_waitcnt vmcnt(7)
	v_mul_f32_e32 v6, 0x3fb8aa3b, v87
	v_cmp_eq_u32_e32 vcc_lo, 45, v0
	v_fma_f32 v12, -v63, v15, v62
	v_mul_f32_e64 v13, v63, -v15
	s_waitcnt vmcnt(6)
	v_mul_f32_e32 v42, 0x3fb8aa3b, v84
	v_exp_f32_e32 v7, v6
	v_cndmask_b32_e32 v55, v14, v30, vcc_lo
	v_add_co_u32 v30, vcc_lo, s10, v60
	v_add_co_ci_u32_e32 v31, vcc_lo, s11, v61, vcc_lo
	v_cmp_eq_u32_e32 vcc_lo, 46, v0
	v_add_nc_u32_e32 v6, 0x75404, v1
	s_waitcnt_depctr 0xfff
	v_fma_f32 v34, -v63, v7, v62
	v_cndmask_b32_e32 v56, v13, v12, vcc_lo
	v_add_nc_u32_e32 v12, 0x77620, v1
	v_mul_f32_e64 v35, v63, -v7
	v_ashrrev_i32_e32 v7, 31, v6
	v_add_co_u32 v32, vcc_lo, s10, v52
	s_delay_alu instid0(VALU_DEP_4) | instskip(SKIP_1) | instid1(VALU_DEP_4)
	v_ashrrev_i32_e32 v13, 31, v12
	v_add_co_ci_u32_e32 v33, vcc_lo, s11, v53, vcc_lo
	v_lshlrev_b64 v[14:15], 2, v[6:7]
	v_cmp_eq_u32_e32 vcc_lo, 47, v0
	s_delay_alu instid0(VALU_DEP_4)
	v_lshlrev_b64 v[6:7], 2, v[12:13]
	v_add_nc_u32_e32 v12, 0x7983c, v1
	v_exp_f32_e32 v53, v42
	v_cndmask_b32_e32 v52, v35, v34, vcc_lo
	v_add_co_u32 v34, vcc_lo, s16, v14
	v_add_co_ci_u32_e32 v35, vcc_lo, s17, v15, vcc_lo
	v_add_co_u32 v38, vcc_lo, s16, v6
	v_add_co_ci_u32_e32 v39, vcc_lo, s17, v7, vcc_lo
	s_clause 0x1
	global_load_b32 v47, v[34:35], off
	global_load_b32 v46, v[38:39], off
	v_add_nc_u32_e32 v34, 0x7ba58, v1
	v_ashrrev_i32_e32 v13, 31, v12
	v_add_nc_u32_e32 v38, 0x7dc74, v1
	v_add_co_u32 v22, vcc_lo, s10, v22
	s_delay_alu instid0(VALU_DEP_4) | instskip(NEXT) | instid1(VALU_DEP_4)
	v_ashrrev_i32_e32 v35, 31, v34
	v_lshlrev_b64 v[12:13], 2, v[12:13]
	s_delay_alu instid0(VALU_DEP_4) | instskip(SKIP_1) | instid1(VALU_DEP_3)
	v_ashrrev_i32_e32 v39, 31, v38
	v_add_co_ci_u32_e32 v23, vcc_lo, s11, v23, vcc_lo
	v_add_co_u32 v42, vcc_lo, s16, v12
	s_delay_alu instid0(VALU_DEP_4)
	v_add_co_ci_u32_e32 v43, vcc_lo, s17, v13, vcc_lo
	s_waitcnt vmcnt(5)
	v_mul_f32_e32 v65, 0x3fb8aa3b, v65
	s_clause 0x7
	global_store_b32 v[18:19], v48, off
	global_store_b32 v[20:21], v49, off
	;; [unrolled: 1-line block ×8, first 2 shown]
	v_lshlrev_b64 v[20:21], 2, v[34:35]
	v_add_nc_u32_e32 v22, 0x7fe90, v1
	v_lshlrev_b64 v[18:19], 2, v[38:39]
	v_add_nc_u32_e32 v28, 0x820ac, v1
	global_load_b32 v48, v[42:43], off
	v_fma_f32 v30, -v63, v53, v62
	v_ashrrev_i32_e32 v23, 31, v22
	v_add_co_u32 v24, vcc_lo, s16, v20
	v_add_co_ci_u32_e32 v25, vcc_lo, s17, v21, vcc_lo
	v_add_co_u32 v26, vcc_lo, s16, v18
	s_delay_alu instid0(VALU_DEP_4)
	v_lshlrev_b64 v[22:23], 2, v[22:23]
	v_add_co_ci_u32_e32 v27, vcc_lo, s17, v19, vcc_lo
	v_ashrrev_i32_e32 v29, 31, v28
	global_load_b32 v50, v[24:25], off
	v_mul_f32_e64 v31, v63, -v53
	global_load_b32 v49, v[26:27], off
	v_add_co_u32 v26, vcc_lo, s16, v22
	v_add_co_ci_u32_e32 v27, vcc_lo, s17, v23, vcc_lo
	v_lshlrev_b64 v[24:25], 2, v[28:29]
	v_cmp_eq_u32_e32 vcc_lo, 48, v0
	v_add_nc_u32_e32 v28, 0x842c8, v1
	global_load_b32 v51, v[26:27], off
	v_mul_f32_e32 v32, 0x3fb8aa3b, v67
	v_exp_f32_e32 v65, v65
	v_cndmask_b32_e32 v70, v31, v30, vcc_lo
	v_add_co_u32 v30, vcc_lo, s16, v24
	v_ashrrev_i32_e32 v29, 31, v28
	v_add_co_ci_u32_e32 v31, vcc_lo, s17, v25, vcc_lo
	v_exp_f32_e32 v32, v32
	v_add_co_u32 v38, vcc_lo, s10, v40
	global_load_b32 v52, v[30:31], off
	v_lshlrev_b64 v[26:27], 2, v[28:29]
	v_add_nc_u32_e32 v28, 0x864e4, v1
	v_add_co_ci_u32_e32 v39, vcc_lo, s11, v41, vcc_lo
	v_mul_f32_e32 v40, 0x3fb8aa3b, v66
	s_delay_alu instid0(VALU_DEP_3) | instskip(SKIP_2) | instid1(VALU_DEP_3)
	v_ashrrev_i32_e32 v29, 31, v28
	v_add_co_u32 v30, vcc_lo, s16, v26
	v_add_co_ci_u32_e32 v31, vcc_lo, s17, v27, vcc_lo
	v_lshlrev_b64 v[28:29], 2, v[28:29]
	v_fma_f32 v34, -v63, v32, v62
	v_mul_f32_e64 v35, v63, -v32
	global_load_b32 v53, v[30:31], off
	v_exp_f32_e32 v55, v40
	v_add_co_u32 v32, vcc_lo, s16, v28
	v_add_co_ci_u32_e32 v33, vcc_lo, s17, v29, vcc_lo
	v_cmp_eq_u32_e32 vcc_lo, 49, v0
	global_load_b32 v54, v[32:33], off
	v_add_nc_u32_e32 v30, 0x88700, v1
	v_dual_cndmask_b32 v71, v35, v34 :: v_dual_add_nc_u32 v32, 0x8a91c, v1
	v_add_co_u32 v40, vcc_lo, s10, v36
	s_delay_alu instid0(VALU_DEP_3) | instskip(SKIP_1) | instid1(VALU_DEP_4)
	v_ashrrev_i32_e32 v31, 31, v30
	v_add_nc_u32_e32 v36, 0x8cb38, v1
	v_ashrrev_i32_e32 v33, 31, v32
	v_add_co_ci_u32_e32 v41, vcc_lo, s11, v37, vcc_lo
	s_delay_alu instid0(VALU_DEP_4) | instskip(NEXT) | instid1(VALU_DEP_4)
	v_lshlrev_b64 v[30:31], 2, v[30:31]
	v_ashrrev_i32_e32 v37, 31, v36
	s_delay_alu instid0(VALU_DEP_4)
	v_lshlrev_b64 v[34:35], 2, v[32:33]
	v_fma_f32 v59, -v63, v55, v62
	v_mul_f32_e64 v60, v63, -v55
	v_add_co_u32 v42, vcc_lo, s16, v30
	v_add_co_ci_u32_e32 v43, vcc_lo, s17, v31, vcc_lo
	v_lshlrev_b64 v[32:33], 2, v[36:37]
	v_add_nc_u32_e32 v36, 0x8ed54, v1
	global_load_b32 v55, v[42:43], off
	v_add_co_u32 v42, vcc_lo, s16, v34
	v_add_co_ci_u32_e32 v43, vcc_lo, s17, v35, vcc_lo
	v_add_co_u32 v57, vcc_lo, s16, v32
	v_ashrrev_i32_e32 v37, 31, v36
	v_add_co_ci_u32_e32 v58, vcc_lo, s17, v33, vcc_lo
	global_load_b32 v56, v[42:43], off
	v_cmp_eq_u32_e32 vcc_lo, 50, v0
	v_lshlrev_b64 v[36:37], 2, v[36:37]
	global_load_b32 v57, v[57:58], off
	v_dual_cndmask_b32 v79, v60, v59 :: v_dual_add_nc_u32 v42, 0x90f70, v1
	v_add_nc_u32_e32 v60, 0x9318c, v1
	v_add_co_u32 v58, vcc_lo, s16, v36
	s_delay_alu instid0(VALU_DEP_3) | instskip(SKIP_3) | instid1(VALU_DEP_4)
	v_ashrrev_i32_e32 v43, 31, v42
	v_add_co_ci_u32_e32 v59, vcc_lo, s17, v37, vcc_lo
	v_add_co_u32 v66, vcc_lo, s10, v16
	v_add_co_ci_u32_e32 v67, vcc_lo, s11, v17, vcc_lo
	v_lshlrev_b64 v[16:17], 2, v[42:43]
	v_add_nc_u32_e32 v42, 0x953a8, v1
	v_ashrrev_i32_e32 v61, 31, v60
	global_load_b32 v58, v[58:59], off
	s_clause 0x1
	global_store_b32 v[38:39], v70, off
	global_store_b32 v[40:41], v71, off
	v_fma_f32 v71, -v63, v65, v62
	v_ashrrev_i32_e32 v43, 31, v42
	v_lshlrev_b64 v[40:41], 2, v[60:61]
	v_add_co_u32 v68, vcc_lo, s16, v16
	v_add_co_ci_u32_e32 v69, vcc_lo, s17, v17, vcc_lo
	s_delay_alu instid0(VALU_DEP_4) | instskip(SKIP_3) | instid1(VALU_DEP_3)
	v_lshlrev_b64 v[38:39], 2, v[42:43]
	v_add_nc_u32_e32 v42, 0x975c4, v1
	v_add_co_u32 v60, vcc_lo, s16, v40
	v_add_co_ci_u32_e32 v61, vcc_lo, s17, v41, vcc_lo
	v_ashrrev_i32_e32 v43, 31, v42
	global_load_b32 v59, v[68:69], off
	v_mul_f32_e64 v65, v63, -v65
	global_load_b32 v80, v[60:61], off
	v_add_co_u32 v68, vcc_lo, s16, v38
	v_lshlrev_b64 v[42:43], 2, v[42:43]
	v_add_co_ci_u32_e32 v69, vcc_lo, s17, v39, vcc_lo
	v_add_nc_u32_e32 v60, 0x997e0, v1
	v_add_nc_u32_e32 v70, 0x9b9fc, v1
	global_load_b32 v81, v[68:69], off
	v_add_co_u32 v68, vcc_lo, s16, v42
	v_add_co_ci_u32_e32 v69, vcc_lo, s17, v43, vcc_lo
	v_cmp_eq_u32_e32 vcc_lo, 51, v0
	v_ashrrev_i32_e32 v61, 31, v60
	s_waitcnt vmcnt(18)
	v_mul_f32_e32 v64, 0x3fb8aa3b, v64
	global_load_b32 v83, v[68:69], off
	v_cndmask_b32_e32 v82, v65, v71, vcc_lo
	v_ashrrev_i32_e32 v71, 31, v70
	v_lshlrev_b64 v[60:61], 2, v[60:61]
	v_add_co_u32 v4, vcc_lo, s10, v4
	v_exp_f32_e32 v74, v64
	s_delay_alu instid0(VALU_DEP_3) | instskip(SKIP_1) | instid1(VALU_DEP_4)
	v_lshlrev_b64 v[64:65], 2, v[70:71]
	v_add_co_ci_u32_e32 v5, vcc_lo, s11, v5, vcc_lo
	v_add_co_u32 v70, vcc_lo, s16, v60
	v_add_co_ci_u32_e32 v71, vcc_lo, s17, v61, vcc_lo
	s_delay_alu instid0(VALU_DEP_4)
	v_add_co_u32 v72, vcc_lo, s16, v64
	v_add_co_ci_u32_e32 v73, vcc_lo, s17, v65, vcc_lo
	global_load_b32 v84, v[70:71], off
	v_fma_f32 v75, -v63, v74, v62
	v_mul_f32_e64 v76, v63, -v74
	global_load_b32 v85, v[72:73], off
	v_add_nc_u32_e32 v68, 0x9dc18, v1
	v_add_nc_u32_e32 v70, 0x9fe34, v1
	;; [unrolled: 1-line block ×3, first 2 shown]
	s_delay_alu instid0(VALU_DEP_3) | instskip(NEXT) | instid1(VALU_DEP_3)
	v_ashrrev_i32_e32 v69, 31, v68
	v_ashrrev_i32_e32 v71, 31, v70
	s_delay_alu instid0(VALU_DEP_2) | instskip(NEXT) | instid1(VALU_DEP_2)
	v_lshlrev_b64 v[68:69], 2, v[68:69]
	v_lshlrev_b64 v[70:71], 2, v[70:71]
	s_delay_alu instid0(VALU_DEP_2) | instskip(NEXT) | instid1(VALU_DEP_3)
	v_add_co_u32 v72, vcc_lo, s16, v68
	v_add_co_ci_u32_e32 v73, vcc_lo, s17, v69, vcc_lo
	v_cmp_eq_u32_e32 vcc_lo, 52, v0
	s_waitcnt vmcnt(17)
	v_mul_f32_e32 v46, 0x3fb8aa3b, v46
	global_load_b32 v87, v[72:73], off
	v_cndmask_b32_e32 v86, v76, v75, vcc_lo
	v_add_nc_u32_e32 v76, 0xa426c, v1
	v_ashrrev_i32_e32 v75, 31, v74
	v_add_co_u32 v72, vcc_lo, s16, v70
	v_add_co_ci_u32_e32 v73, vcc_lo, s17, v71, vcc_lo
	s_delay_alu instid0(VALU_DEP_4) | instskip(NEXT) | instid1(VALU_DEP_4)
	v_ashrrev_i32_e32 v77, 31, v76
	v_lshlrev_b64 v[74:75], 2, v[74:75]
	v_add_co_u32 v2, vcc_lo, s10, v2
	v_add_co_ci_u32_e32 v3, vcc_lo, s11, v3, vcc_lo
	s_delay_alu instid0(VALU_DEP_4)
	v_lshlrev_b64 v[76:77], 2, v[76:77]
	global_load_b32 v88, v[72:73], off
	v_add_co_u32 v72, vcc_lo, s16, v74
	v_add_co_ci_u32_e32 v73, vcc_lo, s17, v75, vcc_lo
	s_clause 0x1
	global_store_b32 v[66:67], v79, off
	global_store_b32 v[4:5], v82, off
	v_add_co_u32 v4, vcc_lo, s16, v76
	v_add_co_ci_u32_e32 v5, vcc_lo, s17, v77, vcc_lo
	v_ashrrev_i32_e32 v79, 31, v78
	global_load_b32 v82, v[72:73], off
	v_add_co_u32 v10, vcc_lo, s10, v10
	global_load_b32 v89, v[4:5], off
	v_add_nc_u32_e32 v72, 0xa86a4, v1
	v_lshlrev_b64 v[66:67], 2, v[78:79]
	v_add_co_ci_u32_e32 v11, vcc_lo, s11, v11, vcc_lo
	v_exp_f32_e32 v46, v46
	s_delay_alu instid0(VALU_DEP_3) | instskip(NEXT) | instid1(VALU_DEP_3)
	v_ashrrev_i32_e32 v73, 31, v72
	v_add_co_u32 v4, vcc_lo, s16, v66
	s_delay_alu instid0(VALU_DEP_4) | instskip(NEXT) | instid1(VALU_DEP_3)
	v_add_co_ci_u32_e32 v5, vcc_lo, s17, v67, vcc_lo
	v_lshlrev_b64 v[72:73], 2, v[72:73]
	v_add_co_u32 v8, vcc_lo, s10, v8
	v_add_co_ci_u32_e32 v9, vcc_lo, s11, v9, vcc_lo
	global_load_b32 v90, v[4:5], off
	v_add_co_u32 v78, vcc_lo, s16, v72
	v_add_co_ci_u32_e32 v79, vcc_lo, s17, v73, vcc_lo
	v_add_co_u32 v14, vcc_lo, s10, v14
	v_add_co_ci_u32_e32 v15, vcc_lo, s11, v15, vcc_lo
	global_load_b32 v91, v[78:79], off
	v_add_nc_u32_e32 v4, 0xaa8c0, v1
	v_dual_mul_f32 v1, 0x3fb8aa3b, v44 :: v_dual_mul_f32 v44, 0x3fb8aa3b, v45
	v_mul_f32_e32 v45, 0x3fb8aa3b, v47
	s_delay_alu instid0(VALU_DEP_3) | instskip(NEXT) | instid1(VALU_DEP_3)
	v_ashrrev_i32_e32 v5, 31, v4
	v_exp_f32_e32 v1, v1
	s_delay_alu instid0(VALU_DEP_3) | instskip(NEXT) | instid1(VALU_DEP_2)
	v_exp_f32_e32 v44, v44
	v_exp_f32_e32 v45, v45
	s_delay_alu instid0(VALU_DEP_1) | instskip(NEXT) | instid1(VALU_DEP_1)
	v_lshlrev_b64 v[4:5], 2, v[4:5]
	v_add_co_u32 v78, vcc_lo, s16, v4
	s_delay_alu instid0(VALU_DEP_2) | instskip(NEXT) | instid1(TRANS32_DEP_3)
	v_add_co_ci_u32_e32 v79, vcc_lo, s17, v5, vcc_lo
	v_fma_f32 v47, -v63, v1, v62
	v_mul_f32_e64 v1, v63, -v1
	v_cmp_eq_u32_e32 vcc_lo, 53, v0
	global_load_b32 v78, v[78:79], off
	v_cndmask_b32_e32 v1, v1, v47, vcc_lo
	v_fma_f32 v47, -v63, v44, v62
	v_mul_f32_e64 v44, v63, -v44
	v_cmp_eq_u32_e32 vcc_lo, 54, v0
	s_delay_alu instid0(VALU_DEP_2) | instskip(SKIP_3) | instid1(VALU_DEP_2)
	v_cndmask_b32_e32 v44, v44, v47, vcc_lo
	v_fma_f32 v47, -v63, v45, v62
	v_mul_f32_e64 v45, v63, -v45
	v_cmp_eq_u32_e32 vcc_lo, 55, v0
	v_cndmask_b32_e32 v45, v45, v47, vcc_lo
	v_cmp_eq_u32_e32 vcc_lo, 56, v0
	s_clause 0x3
	global_store_b32 v[2:3], v86, off
	global_store_b32 v[10:11], v1, off
	global_store_b32 v[8:9], v44, off
	global_store_b32 v[14:15], v45, off
	s_waitcnt vmcnt(23)
	v_mul_f32_e32 v48, 0x3fb8aa3b, v48
	s_delay_alu instid0(VALU_DEP_1) | instskip(SKIP_3) | instid1(VALU_DEP_1)
	v_exp_f32_e32 v47, v48
	v_fma_f32 v48, -v63, v46, v62
	v_mul_f32_e64 v46, v63, -v46
	s_waitcnt vmcnt(22)
	v_dual_cndmask_b32 v3, v46, v48 :: v_dual_mul_f32 v50, 0x3fb8aa3b, v50
	v_add_co_u32 v1, vcc_lo, s10, v6
	v_add_co_ci_u32_e32 v2, vcc_lo, s11, v7, vcc_lo
	s_waitcnt_depctr 0xfff
	v_fma_f32 v8, -v63, v47, v62
	v_exp_f32_e32 v9, v50
	v_mul_f32_e64 v10, v63, -v47
	s_waitcnt vmcnt(21)
	v_mul_f32_e32 v11, 0x3fb8aa3b, v49
	v_cmp_eq_u32_e32 vcc_lo, 57, v0
	s_delay_alu instid0(VALU_DEP_3) | instskip(NEXT) | instid1(VALU_DEP_3)
	v_cndmask_b32_e32 v44, v10, v8, vcc_lo
	v_exp_f32_e32 v8, v11
	v_add_co_u32 v6, vcc_lo, s10, v12
	v_add_co_ci_u32_e32 v7, vcc_lo, s11, v13, vcc_lo
	s_delay_alu instid0(TRANS32_DEP_2)
	v_fma_f32 v10, -v63, v9, v62
	v_mul_f32_e64 v9, v63, -v9
	v_cmp_eq_u32_e32 vcc_lo, 58, v0
	s_waitcnt vmcnt(20)
	v_mul_f32_e32 v11, 0x3fb8aa3b, v51
	s_waitcnt vmcnt(19)
	v_mul_f32_e32 v13, 0x3fb8aa3b, v52
	v_mul_f32_e64 v12, v63, -v8
	v_cndmask_b32_e32 v45, v9, v10, vcc_lo
	v_fma_f32 v10, -v63, v8, v62
	v_add_co_u32 v8, vcc_lo, s10, v20
	v_exp_f32_e32 v11, v11
	v_add_co_ci_u32_e32 v9, vcc_lo, s11, v21, vcc_lo
	v_cmp_eq_u32_e32 vcc_lo, 59, v0
	s_waitcnt vmcnt(18)
	v_dual_mul_f32 v15, 0x3fb8aa3b, v53 :: v_dual_cndmask_b32 v46, v12, v10
	v_exp_f32_e32 v12, v13
	v_add_co_u32 v10, vcc_lo, s10, v18
	s_waitcnt_depctr 0xfff
	v_fma_f32 v13, -v63, v11, v62
	v_mul_f32_e64 v14, v63, -v11
	v_add_co_ci_u32_e32 v11, vcc_lo, s11, v19, vcc_lo
	v_cmp_eq_u32_e32 vcc_lo, 60, v0
	v_exp_f32_e32 v15, v15
	s_waitcnt vmcnt(17)
	v_mul_f32_e32 v19, 0x3fb8aa3b, v54
	v_mul_f32_e64 v18, v63, -v12
	v_cndmask_b32_e32 v47, v14, v13, vcc_lo
	v_fma_f32 v14, -v63, v12, v62
	v_add_co_u32 v12, vcc_lo, s10, v22
	v_add_co_ci_u32_e32 v13, vcc_lo, s11, v23, vcc_lo
	v_cmp_eq_u32_e32 vcc_lo, 61, v0
	s_delay_alu instid0(TRANS32_DEP_1)
	v_mul_f32_e64 v20, v63, -v15
	v_cndmask_b32_e32 v22, v18, v14, vcc_lo
	v_exp_f32_e32 v18, v19
	v_add_co_u32 v14, vcc_lo, s10, v24
	v_fma_f32 v19, -v63, v15, v62
	v_add_co_ci_u32_e32 v15, vcc_lo, s11, v25, vcc_lo
	v_cmp_eq_u32_e32 vcc_lo, 62, v0
	s_waitcnt vmcnt(16)
	v_mul_f32_e32 v21, 0x3fb8aa3b, v55
	s_waitcnt_depctr 0xfff
	v_mul_f32_e64 v24, v63, -v18
	v_cndmask_b32_e32 v23, v20, v19, vcc_lo
	v_fma_f32 v20, -v63, v18, v62
	v_add_co_u32 v18, vcc_lo, s10, v26
	v_exp_f32_e32 v25, v21
	v_add_co_ci_u32_e32 v19, vcc_lo, s11, v27, vcc_lo
	v_cmp_eq_u32_e32 vcc_lo, 63, v0
	s_waitcnt vmcnt(15)
	v_mul_f32_e32 v26, 0x3fb8aa3b, v56
	v_cndmask_b32_e32 v24, v24, v20, vcc_lo
	v_add_co_u32 v20, vcc_lo, s10, v28
	s_delay_alu instid0(VALU_DEP_3) | instskip(SKIP_1) | instid1(TRANS32_DEP_2)
	v_exp_f32_e32 v26, v26
	v_add_co_ci_u32_e32 v21, vcc_lo, s11, v29, vcc_lo
	v_fma_f32 v27, -v63, v25, v62
	v_mul_f32_e64 v25, v63, -v25
	v_cmp_eq_u32_e32 vcc_lo, 64, v0
	s_waitcnt vmcnt(14)
	v_mul_f32_e32 v28, 0x3fb8aa3b, v57
	s_clause 0x7
	global_store_b32 v[1:2], v3, off
	global_store_b32 v[6:7], v44, off
	;; [unrolled: 1-line block ×8, first 2 shown]
	v_cndmask_b32_e32 v3, v25, v27, vcc_lo
	v_add_co_u32 v1, vcc_lo, s10, v30
	v_exp_f32_e32 v7, v28
	v_add_co_ci_u32_e32 v2, vcc_lo, s11, v31, vcc_lo
	v_fma_f32 v6, -v63, v26, v62
	v_mul_f32_e64 v8, v63, -v26
	s_waitcnt vmcnt(13)
	v_mul_f32_e32 v9, 0x3fb8aa3b, v58
	v_cmp_eq_u32_e32 vcc_lo, 0x41, v0
	s_waitcnt_depctr 0xfff
	v_mul_f32_e64 v10, v63, -v7
	v_cndmask_b32_e32 v20, v8, v6, vcc_lo
	v_exp_f32_e32 v8, v9
	v_add_co_u32 v6, vcc_lo, s10, v34
	v_fma_f32 v9, -v63, v7, v62
	v_add_co_ci_u32_e32 v7, vcc_lo, s11, v35, vcc_lo
	v_cmp_eq_u32_e32 vcc_lo, 0x42, v0
	s_waitcnt vmcnt(12)
	v_mul_f32_e32 v11, 0x3fb8aa3b, v59
	s_waitcnt vmcnt(11)
	v_mul_f32_e32 v13, 0x3fb8aa3b, v80
	s_delay_alu instid0(TRANS32_DEP_1)
	v_mul_f32_e64 v12, v63, -v8
	v_cndmask_b32_e32 v21, v10, v9, vcc_lo
	v_fma_f32 v10, -v63, v8, v62
	v_add_co_u32 v8, vcc_lo, s10, v32
	v_exp_f32_e32 v11, v11
	v_add_co_ci_u32_e32 v9, vcc_lo, s11, v33, vcc_lo
	v_cmp_eq_u32_e32 vcc_lo, 0x43, v0
	s_waitcnt vmcnt(10)
	v_mul_f32_e32 v15, 0x3fb8aa3b, v81
	s_waitcnt vmcnt(9)
	v_dual_mul_f32 v19, 0x3fb8aa3b, v83 :: v_dual_cndmask_b32 v22, v12, v10
	v_exp_f32_e32 v12, v13
	v_add_co_u32 v10, vcc_lo, s10, v36
	s_delay_alu instid0(TRANS32_DEP_2) | instskip(SKIP_4) | instid1(TRANS32_DEP_2)
	v_fma_f32 v13, -v63, v11, v62
	v_mul_f32_e64 v14, v63, -v11
	v_add_co_ci_u32_e32 v11, vcc_lo, s11, v37, vcc_lo
	v_cmp_eq_u32_e32 vcc_lo, 0x44, v0
	v_exp_f32_e32 v15, v15
	v_mul_f32_e64 v18, v63, -v12
	v_cndmask_b32_e32 v23, v14, v13, vcc_lo
	v_fma_f32 v14, -v63, v12, v62
	v_add_co_u32 v12, vcc_lo, s10, v16
	v_add_co_ci_u32_e32 v13, vcc_lo, s11, v17, vcc_lo
	v_cmp_eq_u32_e32 vcc_lo, 0x45, v0
	v_exp_f32_e32 v16, v19
	s_delay_alu instid0(TRANS32_DEP_2)
	v_fma_f32 v17, -v63, v15, v62
	s_waitcnt vmcnt(7)
	v_dual_mul_f32 v19, 0x3fb8aa3b, v84 :: v_dual_mul_f32 v28, 0x3fb8aa3b, v85
	v_cndmask_b32_e32 v24, v18, v14, vcc_lo
	v_add_co_u32 v14, vcc_lo, s10, v40
	v_mul_f32_e64 v18, v63, -v15
	v_add_co_ci_u32_e32 v15, vcc_lo, s11, v41, vcc_lo
	v_cmp_eq_u32_e32 vcc_lo, 0x46, v0
	s_delay_alu instid0(TRANS32_DEP_1)
	v_mul_f32_e64 v26, v63, -v16
	v_exp_f32_e32 v27, v19
	v_exp_f32_e32 v28, v28
	v_cndmask_b32_e32 v25, v18, v17, vcc_lo
	v_fma_f32 v18, -v63, v16, v62
	v_add_co_u32 v16, vcc_lo, s10, v38
	v_add_co_ci_u32_e32 v17, vcc_lo, s11, v39, vcc_lo
	v_cmp_eq_u32_e32 vcc_lo, 0x47, v0
	s_delay_alu instid0(TRANS32_DEP_2)
	v_fma_f32 v29, -v63, v27, v62
	v_mul_f32_e64 v27, v63, -v27
	s_waitcnt vmcnt(6)
	v_mul_f32_e32 v30, 0x3fb8aa3b, v87
	v_cndmask_b32_e32 v26, v26, v18, vcc_lo
	v_add_co_u32 v18, vcc_lo, s10, v42
	v_add_co_ci_u32_e32 v19, vcc_lo, s11, v43, vcc_lo
	v_cmp_eq_u32_e32 vcc_lo, 0x48, v0
	s_clause 0x7
	global_store_b32 v[1:2], v3, off
	global_store_b32 v[6:7], v20, off
	;; [unrolled: 1-line block ×8, first 2 shown]
	v_exp_f32_e32 v3, v30
	v_fma_f32 v6, -v63, v28, v62
	v_mul_f32_e64 v7, v63, -v28
	v_cndmask_b32_e32 v20, v27, v29, vcc_lo
	v_add_co_u32 v1, vcc_lo, s10, v60
	v_add_co_ci_u32_e32 v2, vcc_lo, s11, v61, vcc_lo
	s_waitcnt vmcnt(5)
	v_mul_f32_e32 v8, 0x3fb8aa3b, v88
	v_cmp_eq_u32_e32 vcc_lo, 0x49, v0
	s_delay_alu instid0(TRANS32_DEP_1) | instskip(SKIP_1) | instid1(VALU_DEP_4)
	v_fma_f32 v9, -v63, v3, v62
	v_mul_f32_e64 v3, v63, -v3
	v_exp_f32_e32 v8, v8
	v_cndmask_b32_e32 v21, v7, v6, vcc_lo
	v_add_co_u32 v6, vcc_lo, s10, v64
	v_add_co_ci_u32_e32 v7, vcc_lo, s11, v65, vcc_lo
	s_waitcnt vmcnt(4)
	v_mul_f32_e32 v10, 0x3fb8aa3b, v82
	v_cmp_eq_u32_e32 vcc_lo, 0x4a, v0
	s_waitcnt vmcnt(3)
	v_mul_f32_e32 v12, 0x3fb8aa3b, v89
	s_delay_alu instid0(TRANS32_DEP_1)
	v_mul_f32_e64 v11, v63, -v8
	v_cndmask_b32_e32 v22, v3, v9, vcc_lo
	v_exp_f32_e32 v3, v10
	v_fma_f32 v10, -v63, v8, v62
	v_add_co_u32 v8, vcc_lo, s10, v68
	v_add_co_ci_u32_e32 v9, vcc_lo, s11, v69, vcc_lo
	v_cmp_eq_u32_e32 vcc_lo, 0x4b, v0
	v_exp_f32_e32 v12, v12
	s_waitcnt_depctr 0xfff
	v_fma_f32 v13, -v63, v3, v62
	v_cndmask_b32_e32 v23, v11, v10, vcc_lo
	v_add_co_u32 v10, vcc_lo, s10, v70
	v_add_co_ci_u32_e32 v11, vcc_lo, s11, v71, vcc_lo
	v_mul_f32_e64 v3, v63, -v3
	s_waitcnt vmcnt(2)
	v_mul_f32_e32 v14, 0x3fb8aa3b, v90
	v_cmp_eq_u32_e32 vcc_lo, 0x4c, v0
	v_mul_f32_e64 v15, v63, -v12
	s_waitcnt vmcnt(1)
	v_mul_f32_e32 v16, 0x3fb8aa3b, v91
	v_cndmask_b32_e32 v24, v3, v13, vcc_lo
	v_exp_f32_e32 v3, v14
	v_fma_f32 v14, -v63, v12, v62
	v_add_co_u32 v12, vcc_lo, s10, v74
	v_add_co_ci_u32_e32 v13, vcc_lo, s11, v75, vcc_lo
	v_cmp_eq_u32_e32 vcc_lo, 0x4d, v0
	v_exp_f32_e32 v16, v16
	s_waitcnt_depctr 0xfff
	v_fma_f32 v17, -v63, v3, v62
	v_cndmask_b32_e32 v25, v15, v14, vcc_lo
	v_add_co_u32 v14, vcc_lo, s10, v76
	v_add_co_ci_u32_e32 v15, vcc_lo, s11, v77, vcc_lo
	v_mul_f32_e64 v3, v63, -v3
	v_cmp_eq_u32_e32 vcc_lo, 0x4e, v0
	v_mul_f32_e64 v19, v63, -v16
	s_waitcnt vmcnt(0)
	v_mul_f32_e32 v18, 0x3fb8aa3b, v78
	v_cndmask_b32_e32 v26, v3, v17, vcc_lo
	v_fma_f32 v3, -v63, v16, v62
	v_add_co_u32 v16, vcc_lo, s10, v66
	s_delay_alu instid0(VALU_DEP_4)
	v_exp_f32_e32 v18, v18
	v_add_co_ci_u32_e32 v17, vcc_lo, s11, v67, vcc_lo
	v_cmp_eq_u32_e32 vcc_lo, 0x4f, v0
	v_cndmask_b32_e32 v27, v19, v3, vcc_lo
	s_waitcnt_depctr 0xfff
	v_fma_f32 v3, -v63, v18, v62
	v_mul_f32_e64 v28, v63, -v18
	v_add_co_u32 v18, vcc_lo, s10, v72
	v_add_co_ci_u32_e32 v19, vcc_lo, s11, v73, vcc_lo
	v_cmp_eq_u32_e32 vcc_lo, 0x50, v0
	s_delay_alu instid0(VALU_DEP_4)
	v_cndmask_b32_e32 v0, v28, v3, vcc_lo
	v_add_co_u32 v3, vcc_lo, s10, v4
	v_add_co_ci_u32_e32 v4, vcc_lo, s11, v5, vcc_lo
	s_clause 0x8
	global_store_b32 v[1:2], v20, off
	global_store_b32 v[6:7], v21, off
	global_store_b32 v[8:9], v22, off
	global_store_b32 v[10:11], v23, off
	global_store_b32 v[12:13], v24, off
	global_store_b32 v[14:15], v25, off
	global_store_b32 v[16:17], v26, off
	global_store_b32 v[18:19], v27, off
	global_store_b32 v[3:4], v0, off
.LBB1_4:
	s_nop 0
	s_sendmsg sendmsg(MSG_DEALLOC_VGPRS)
	s_endpgm
	.section	.rodata,"a",@progbits
	.p2align	6, 0x0
	.amdhsa_kernel _Z8loss_bwdIffEvPKT_PKT0_S5_PKlS2_S7_PS3_
		.amdhsa_group_segment_fixed_size 0
		.amdhsa_private_segment_fixed_size 0
		.amdhsa_kernarg_size 56
		.amdhsa_user_sgpr_count 14
		.amdhsa_user_sgpr_dispatch_ptr 0
		.amdhsa_user_sgpr_queue_ptr 0
		.amdhsa_user_sgpr_kernarg_segment_ptr 1
		.amdhsa_user_sgpr_dispatch_id 0
		.amdhsa_user_sgpr_private_segment_size 0
		.amdhsa_wavefront_size32 1
		.amdhsa_uses_dynamic_stack 0
		.amdhsa_enable_private_segment 0
		.amdhsa_system_sgpr_workgroup_id_x 1
		.amdhsa_system_sgpr_workgroup_id_y 1
		.amdhsa_system_sgpr_workgroup_id_z 0
		.amdhsa_system_sgpr_workgroup_info 0
		.amdhsa_system_vgpr_workitem_id 0
		.amdhsa_next_free_vgpr 94
		.amdhsa_next_free_sgpr 20
		.amdhsa_reserve_vcc 1
		.amdhsa_float_round_mode_32 0
		.amdhsa_float_round_mode_16_64 0
		.amdhsa_float_denorm_mode_32 3
		.amdhsa_float_denorm_mode_16_64 3
		.amdhsa_dx10_clamp 1
		.amdhsa_ieee_mode 1
		.amdhsa_fp16_overflow 0
		.amdhsa_workgroup_processor_mode 1
		.amdhsa_memory_ordered 1
		.amdhsa_forward_progress 0
		.amdhsa_shared_vgpr_count 0
		.amdhsa_exception_fp_ieee_invalid_op 0
		.amdhsa_exception_fp_denorm_src 0
		.amdhsa_exception_fp_ieee_div_zero 0
		.amdhsa_exception_fp_ieee_overflow 0
		.amdhsa_exception_fp_ieee_underflow 0
		.amdhsa_exception_fp_ieee_inexact 0
		.amdhsa_exception_int_div_zero 0
	.end_amdhsa_kernel
	.section	.text._Z8loss_bwdIffEvPKT_PKT0_S5_PKlS2_S7_PS3_,"axG",@progbits,_Z8loss_bwdIffEvPKT_PKT0_S5_PKlS2_S7_PS3_,comdat
.Lfunc_end1:
	.size	_Z8loss_bwdIffEvPKT_PKT0_S5_PKlS2_S7_PS3_, .Lfunc_end1-_Z8loss_bwdIffEvPKT_PKT0_S5_PKlS2_S7_PS3_
                                        ; -- End function
	.section	.AMDGPU.csdata,"",@progbits
; Kernel info:
; codeLenInByte = 8884
; NumSgprs: 22
; NumVgprs: 94
; ScratchSize: 0
; MemoryBound: 0
; FloatMode: 240
; IeeeMode: 1
; LDSByteSize: 0 bytes/workgroup (compile time only)
; SGPRBlocks: 2
; VGPRBlocks: 11
; NumSGPRsForWavesPerEU: 22
; NumVGPRsForWavesPerEU: 94
; Occupancy: 16
; WaveLimiterHint : 1
; COMPUTE_PGM_RSRC2:SCRATCH_EN: 0
; COMPUTE_PGM_RSRC2:USER_SGPR: 14
; COMPUTE_PGM_RSRC2:TRAP_HANDLER: 0
; COMPUTE_PGM_RSRC2:TGID_X_EN: 1
; COMPUTE_PGM_RSRC2:TGID_Y_EN: 1
; COMPUTE_PGM_RSRC2:TGID_Z_EN: 0
; COMPUTE_PGM_RSRC2:TIDIG_COMP_CNT: 0
	.section	.text._Z8loss_bwdIddEvPKT_PKT0_S5_PKlS2_S7_PS3_,"axG",@progbits,_Z8loss_bwdIddEvPKT_PKT0_S5_PKlS2_S7_PS3_,comdat
	.protected	_Z8loss_bwdIddEvPKT_PKT0_S5_PKlS2_S7_PS3_ ; -- Begin function _Z8loss_bwdIddEvPKT_PKT0_S5_PKlS2_S7_PS3_
	.globl	_Z8loss_bwdIddEvPKT_PKT0_S5_PKlS2_S7_PS3_
	.p2align	8
	.type	_Z8loss_bwdIddEvPKT_PKT0_S5_PKlS2_S7_PS3_,@function
_Z8loss_bwdIddEvPKT_PKT0_S5_PKlS2_S7_PS3_: ; @_Z8loss_bwdIddEvPKT_PKT0_S5_PKlS2_S7_PS3_
; %bb.0:
	v_lshl_add_u32 v0, s14, 6, v0
	s_mov_b32 s2, exec_lo
	s_delay_alu instid0(VALU_DEP_1)
	v_cmpx_gt_i32_e32 0x221c, v0
	s_cbranch_execz .LBB2_4
; %bb.1:
	s_load_b256 s[16:23], s[0:1], 0x18
	v_mad_u64_u32 v[3:4], null, 0x221c, s15, v[0:1]
	s_load_b128 s[24:27], s[0:1], 0x0
	s_mov_b32 s2, exec_lo
	s_delay_alu instid0(VALU_DEP_1) | instskip(NEXT) | instid1(VALU_DEP_1)
	v_ashrrev_i32_e32 v4, 31, v3
	v_lshlrev_b64 v[18:19], 3, v[3:4]
	s_waitcnt lgkmcnt(0)
	s_delay_alu instid0(VALU_DEP_1) | instskip(NEXT) | instid1(VALU_DEP_2)
	v_add_co_u32 v0, vcc_lo, s20, v18
	v_add_co_ci_u32_e32 v1, vcc_lo, s21, v19, vcc_lo
	v_add_co_u32 v4, vcc_lo, s16, v18
	v_add_co_ci_u32_e32 v5, vcc_lo, s17, v19, vcc_lo
	;; [unrolled: 2-line block ×3, first 2 shown]
	global_load_b64 v[6:7], v[0:1], off
	global_load_b64 v[0:1], v[4:5], off
	;; [unrolled: 1-line block ×3, first 2 shown]
	s_waitcnt vmcnt(2)
	v_cmpx_ne_u64_e32 0, v[6:7]
	s_cbranch_execz .LBB2_3
; %bb.2:
	s_load_b64 s[0:1], s[0:1], 0x10
	s_waitcnt vmcnt(1) lgkmcnt(0)
	v_add_co_u32 v1, vcc_lo, s0, v18
	v_add_co_ci_u32_e32 v2, vcc_lo, s1, v19, vcc_lo
	global_load_b64 v[1:2], v[1:2], off
	s_waitcnt vmcnt(0)
	v_add_f64 v[12:13], v[12:13], v[1:2]
.LBB2_3:
	s_or_b32 exec_lo, exec_lo, s2
	s_waitcnt vmcnt(1)
	v_mad_u64_u32 v[1:2], null, 0xaa8c0, s15, v[3:4]
	s_mov_b32 s38, 0x652b82fe
	s_mov_b32 s39, 0x3ff71547
	;; [unrolled: 1-line block ×6, first 2 shown]
	s_delay_alu instid0(VALU_DEP_1)
	v_add_nc_u32_e32 v2, 0x8870, v1
	v_add_nc_u32_e32 v10, 0xeec4, v1
	;; [unrolled: 1-line block ×5, first 2 shown]
	v_ashrrev_i32_e32 v3, 31, v2
	v_ashrrev_i32_e32 v11, 31, v10
	;; [unrolled: 1-line block ×5, first 2 shown]
	v_lshlrev_b64 v[4:5], 3, v[2:3]
	v_lshlrev_b64 v[48:49], 3, v[10:11]
	s_mov_b32 s16, 0xfca7ab0c
	v_lshlrev_b64 v[10:11], 3, v[22:23]
	s_mov_b32 s20, 0x6a5dcb37
	s_mov_b32 s17, 0x3e928af3
	v_add_co_u32 v2, vcc_lo, s24, v4
	v_add_co_ci_u32_e32 v3, vcc_lo, s25, v5, vcc_lo
	s_mov_b32 s21, 0x3e5ade15
	s_mov_b32 s14, 0x623fde64
	;; [unrolled: 1-line block ×3, first 2 shown]
	global_load_b64 v[16:17], v[2:3], off
	v_add_nc_u32_e32 v2, 0xaa8c, v1
	s_mov_b32 s10, 0x7c89e6b0
	s_mov_b32 s11, 0x3efa0199
	;; [unrolled: 1-line block ×4, first 2 shown]
	v_ashrrev_i32_e32 v3, 31, v2
	s_mov_b32 s30, 0x11122322
	s_mov_b32 s31, 0x3f811111
	;; [unrolled: 1-line block ×4, first 2 shown]
	v_lshlrev_b64 v[6:7], 3, v[2:3]
	s_mov_b32 s36, 0x55555511
	s_mov_b32 s37, 0x3fc55555
	;; [unrolled: 1-line block ×4, first 2 shown]
	v_add_nc_u32_e32 v82, 0x28814, v1
	v_add_co_u32 v2, vcc_lo, s24, v6
	v_add_co_ci_u32_e32 v3, vcc_lo, s25, v7, vcc_lo
	s_delay_alu instid0(VALU_DEP_3)
	v_ashrrev_i32_e32 v83, 31, v82
	v_add_nc_u32_e32 v134, 0x221c, v1
	v_add_nc_u32_e32 v136, 0x4438, v1
	global_load_b64 v[14:15], v[2:3], off
	v_add_nc_u32_e32 v2, 0xcca8, v1
	v_ashrrev_i32_e32 v135, 31, v134
	v_ashrrev_i32_e32 v137, 31, v136
	s_delay_alu instid0(VALU_DEP_3) | instskip(NEXT) | instid1(VALU_DEP_1)
	v_ashrrev_i32_e32 v3, 31, v2
	v_lshlrev_b64 v[8:9], 3, v[2:3]
	v_add_nc_u32_e32 v2, 0x132fc, v1
	s_delay_alu instid0(VALU_DEP_1) | instskip(NEXT) | instid1(VALU_DEP_3)
	v_ashrrev_i32_e32 v3, 31, v2
	v_add_co_u32 v24, vcc_lo, s24, v8
	s_delay_alu instid0(VALU_DEP_4) | instskip(NEXT) | instid1(VALU_DEP_3)
	v_add_co_ci_u32_e32 v25, vcc_lo, s25, v9, vcc_lo
	v_lshlrev_b64 v[58:59], 3, v[2:3]
	global_load_b64 v[32:33], v[24:25], off
	v_lshlrev_b64 v[24:25], 3, v[20:21]
	v_add_co_u32 v20, vcc_lo, s24, v48
	v_add_co_ci_u32_e32 v21, vcc_lo, s25, v49, vcc_lo
	s_delay_alu instid0(VALU_DEP_3) | instskip(NEXT) | instid1(VALU_DEP_4)
	v_add_co_u32 v28, vcc_lo, s24, v24
	v_add_co_ci_u32_e32 v29, vcc_lo, s25, v25, vcc_lo
	s_clause 0x1
	global_load_b64 v[92:93], v[20:21], off
	global_load_b64 v[74:75], v[28:29], off
	v_add_co_u32 v20, vcc_lo, s24, v10
	v_add_co_ci_u32_e32 v21, vcc_lo, s25, v11, vcc_lo
	v_lshlrev_b64 v[28:29], 3, v[26:27]
	global_load_b64 v[22:23], v[20:21], off
	v_add_co_u32 v20, vcc_lo, s24, v58
	v_add_co_ci_u32_e32 v21, vcc_lo, s25, v59, vcc_lo
	v_add_co_u32 v26, vcc_lo, s24, v28
	v_add_co_ci_u32_e32 v27, vcc_lo, s25, v29, vcc_lo
	s_clause 0x1
	global_load_b64 v[128:129], v[20:21], off
	global_load_b64 v[100:101], v[26:27], off
	v_add_nc_u32_e32 v20, 0x15518, v1
	s_delay_alu instid0(VALU_DEP_1) | instskip(NEXT) | instid1(VALU_DEP_1)
	v_ashrrev_i32_e32 v21, 31, v20
	v_lshlrev_b64 v[84:85], 3, v[20:21]
	v_add_nc_u32_e32 v20, 0x19950, v1
	s_delay_alu instid0(VALU_DEP_2) | instskip(NEXT) | instid1(VALU_DEP_3)
	v_add_co_u32 v26, vcc_lo, s24, v84
	v_add_co_ci_u32_e32 v27, vcc_lo, s25, v85, vcc_lo
	s_delay_alu instid0(VALU_DEP_3) | instskip(SKIP_2) | instid1(VALU_DEP_1)
	v_ashrrev_i32_e32 v21, 31, v20
	global_load_b64 v[70:71], v[26:27], off
	v_lshlrev_b64 v[36:37], 3, v[20:21]
	v_add_co_u32 v26, vcc_lo, s24, v36
	s_delay_alu instid0(VALU_DEP_2) | instskip(SKIP_2) | instid1(VALU_DEP_1)
	v_add_co_ci_u32_e32 v27, vcc_lo, s25, v37, vcc_lo
	global_load_b64 v[60:61], v[26:27], off
	v_add_nc_u32_e32 v26, 0x1bb6c, v1
	v_ashrrev_i32_e32 v27, 31, v26
	s_delay_alu instid0(VALU_DEP_1) | instskip(NEXT) | instid1(VALU_DEP_1)
	v_lshlrev_b64 v[38:39], 3, v[26:27]
	v_add_co_u32 v26, vcc_lo, s24, v38
	s_delay_alu instid0(VALU_DEP_2)
	v_add_co_ci_u32_e32 v27, vcc_lo, s25, v39, vcc_lo
	v_add_co_u32 v18, vcc_lo, s18, v18
	v_add_co_ci_u32_e32 v19, vcc_lo, s19, v19, vcc_lo
	global_load_b64 v[50:51], v[26:27], off
	s_mov_b32 s18, 0x1852b7b0
	s_mov_b32 s19, 0x3f56c16c
	global_load_b64 v[18:19], v[18:19], off
	s_waitcnt vmcnt(11)
	v_mul_f64 v[2:3], v[16:17], s[38:39]
	v_cmp_ngt_f64_e64 s0, 0xc090cc00, v[16:17]
	s_waitcnt vmcnt(10)
	v_mul_f64 v[20:21], v[14:15], s[38:39]
	s_delay_alu instid0(VALU_DEP_3)
	v_rndne_f64_e32 v[2:3], v[2:3]
	s_waitcnt vmcnt(9)
	v_mul_f64 v[44:45], v[32:33], s[38:39]
	v_cmp_nlt_f64_e64 s5, 0x40900000, v[32:33]
	v_cmp_ngt_f64_e64 s6, 0xc090cc00, v[32:33]
	s_waitcnt vmcnt(8)
	v_mul_f64 v[52:53], v[92:93], s[38:39]
	v_rndne_f64_e32 v[34:35], v[20:21]
	s_waitcnt vmcnt(7)
	v_mul_f64 v[54:55], v[74:75], s[38:39]
	v_cmp_ngt_f64_e64 s1, 0xc090cc00, v[92:93]
	v_cmp_ngt_f64_e64 s2, 0xc090cc00, v[74:75]
	v_fma_f64 v[30:31], v[2:3], s[28:29], v[16:17]
	v_mad_u64_u32 v[42:43], null, 0x221c, v0, v[1:2]
	v_cvt_i32_f64_e32 v132, v[2:3]
	s_waitcnt vmcnt(5)
	v_mul_f64 v[56:57], v[128:129], s[38:39]
	s_waitcnt vmcnt(4)
	v_mul_f64 v[62:63], v[100:101], s[38:39]
	v_cmp_nlt_f64_e64 s3, 0x40900000, v[128:129]
	v_cmp_ngt_f64_e64 s4, 0xc090cc00, v[128:129]
	v_ashrrev_i32_e32 v43, 31, v42
	v_rndne_f64_e32 v[88:89], v[44:45]
	s_delay_alu instid0(VALU_DEP_2) | instskip(NEXT) | instid1(VALU_DEP_1)
	v_lshlrev_b64 v[42:43], 3, v[42:43]
	v_add_co_u32 v42, vcc_lo, s24, v42
	s_delay_alu instid0(VALU_DEP_2)
	v_add_co_ci_u32_e32 v43, vcc_lo, s25, v43, vcc_lo
	v_rndne_f64_e32 v[94:95], v[52:53]
	v_rndne_f64_e32 v[98:99], v[54:55]
	v_cvt_i32_f64_e32 v142, v[34:35]
	global_load_b64 v[76:77], v[42:43], off
	v_fma_f64 v[26:27], v[34:35], s[28:29], v[14:15]
	s_waitcnt vmcnt(4)
	v_mul_f64 v[52:53], v[70:71], s[38:39]
	v_fma_f64 v[20:21], v[2:3], s[26:27], v[30:31]
	v_rndne_f64_e32 v[104:105], v[56:57]
	v_rndne_f64_e32 v[108:109], v[62:63]
	s_waitcnt vmcnt(3)
	v_mul_f64 v[62:63], v[60:61], s[38:39]
	v_cmp_ngt_f64_e64 s8, 0xc090cc00, v[60:61]
	v_fma_f64 v[44:45], v[88:89], s[28:29], v[32:33]
	v_fma_f64 v[54:55], v[94:95], s[28:29], v[92:93]
	;; [unrolled: 1-line block ×3, first 2 shown]
	v_cvt_i32_f64_e32 v149, v[94:95]
	v_fma_f64 v[40:41], v[34:35], s[26:27], v[26:27]
	v_rndne_f64_e32 v[110:111], v[52:53]
	s_waitcnt vmcnt(2)
	v_mul_f64 v[52:53], v[50:51], s[38:39]
	s_waitcnt vmcnt(1)
	v_mul_f64 v[138:139], v[18:19], -v[12:13]
	v_lshlrev_b64 v[18:19], 3, v[134:135]
	v_lshlrev_b64 v[12:13], 3, v[136:137]
	v_fma_f64 v[30:31], v[20:21], s[20:21], s[16:17]
	v_fma_f64 v[64:65], v[104:105], s[28:29], v[128:129]
	;; [unrolled: 1-line block ×3, first 2 shown]
	v_rndne_f64_e32 v[116:117], v[62:63]
	v_fma_f64 v[106:107], v[88:89], s[26:27], v[44:45]
	v_fma_f64 v[112:113], v[94:95], s[26:27], v[54:55]
	;; [unrolled: 1-line block ×4, first 2 shown]
	v_rndne_f64_e32 v[80:81], v[52:53]
	v_add_nc_u32_e32 v52, 0x221c0, v1
	s_delay_alu instid0(VALU_DEP_1)
	v_ashrrev_i32_e32 v53, 31, v52
	v_fma_f64 v[26:27], v[20:21], v[30:31], s[14:15]
	v_fma_f64 v[30:31], v[40:41], s[20:21], s[16:17]
	v_fma_f64 v[120:121], v[104:105], s[26:27], v[64:65]
	v_fma_f64 v[122:123], v[108:109], s[26:27], v[66:67]
	v_fma_f64 v[64:65], v[116:117], s[28:29], v[60:61]
	v_lshlrev_b64 v[52:53], 3, v[52:53]
	v_fma_f64 v[44:45], v[106:107], s[20:21], s[16:17]
	v_fma_f64 v[56:57], v[112:113], s[20:21], s[16:17]
	;; [unrolled: 1-line block ×9, first 2 shown]
	v_add_nc_u32_e32 v64, 0x265f8, v1
	v_fma_f64 v[44:45], v[106:107], v[44:45], s[14:15]
	s_delay_alu instid0(VALU_DEP_2)
	v_ashrrev_i32_e32 v65, 31, v64
	v_fma_f64 v[54:55], v[112:113], v[56:57], s[14:15]
	v_fma_f64 v[78:79], v[114:115], v[62:63], s[14:15]
	;; [unrolled: 1-line block ×9, first 2 shown]
	v_lshlrev_b64 v[54:55], 3, v[64:65]
	v_fma_f64 v[78:79], v[114:115], v[78:79], s[10:11]
	v_fma_f64 v[96:97], v[124:125], v[96:97], s[14:15]
	v_fma_f64 v[42:43], v[20:21], v[26:27], s[18:19]
	v_add_nc_u32_e32 v26, 0x1dd88, v1
	v_fma_f64 v[30:31], v[40:41], v[30:31], s[12:13]
	v_fma_f64 v[86:87], v[120:121], v[86:87], s[10:11]
	;; [unrolled: 1-line block ×3, first 2 shown]
	s_delay_alu instid0(VALU_DEP_4) | instskip(SKIP_1) | instid1(VALU_DEP_2)
	v_ashrrev_i32_e32 v27, 31, v26
	v_fma_f64 v[90:91], v[106:107], v[90:91], s[12:13]
	v_lshlrev_b64 v[46:47], 3, v[26:27]
	s_delay_alu instid0(VALU_DEP_1) | instskip(NEXT) | instid1(VALU_DEP_2)
	v_add_co_u32 v26, vcc_lo, s24, v46
	v_add_co_ci_u32_e32 v27, vcc_lo, s25, v47, vcc_lo
	v_fma_f64 v[102:103], v[112:113], v[102:103], s[12:13]
	global_load_b64 v[26:27], v[26:27], off
	v_fma_f64 v[78:79], v[114:115], v[78:79], s[12:13]
	v_fma_f64 v[96:97], v[124:125], v[96:97], s[10:11]
	v_fma_f64 v[42:43], v[20:21], v[42:43], s[30:31]
	v_fma_f64 v[30:31], v[40:41], v[30:31], s[18:19]
	v_fma_f64 v[86:87], v[120:121], v[86:87], s[12:13]
	v_fma_f64 v[130:131], v[122:123], v[130:131], s[12:13]
	v_fma_f64 v[90:91], v[106:107], v[90:91], s[18:19]
	v_fma_f64 v[102:103], v[112:113], v[102:103], s[18:19]
	v_fma_f64 v[78:79], v[114:115], v[78:79], s[18:19]
	v_fma_f64 v[96:97], v[124:125], v[96:97], s[12:13]
	v_fma_f64 v[42:43], v[20:21], v[42:43], s[34:35]
	v_fma_f64 v[30:31], v[40:41], v[30:31], s[30:31]
	v_fma_f64 v[102:103], v[112:113], v[102:103], s[30:31]
	v_fma_f64 v[78:79], v[114:115], v[78:79], s[30:31]
	v_fma_f64 v[96:97], v[124:125], v[96:97], s[18:19]
	v_fma_f64 v[42:43], v[20:21], v[42:43], s[36:37]
	v_fma_f64 v[30:31], v[40:41], v[30:31], s[34:35]
	s_waitcnt vmcnt(1)
	v_mul_f64 v[76:77], v[138:139], v[76:77]
	v_fma_f64 v[102:103], v[112:113], v[102:103], s[34:35]
	v_fma_f64 v[78:79], v[114:115], v[78:79], s[34:35]
	;; [unrolled: 1-line block ×8, first 2 shown]
	v_fma_f64 v[72:73], v[20:21], v[42:43], 1.0
	v_add_nc_u32_e32 v42, 0x1ffa4, v1
	v_fma_f64 v[30:31], v[40:41], v[30:31], s[40:41]
	s_delay_alu instid0(VALU_DEP_2) | instskip(NEXT) | instid1(VALU_DEP_1)
	v_ashrrev_i32_e32 v43, 31, v42
	v_lshlrev_b64 v[56:57], 3, v[42:43]
	v_add_nc_u32_e32 v42, 0x243dc, v1
	s_delay_alu instid0(VALU_DEP_1) | instskip(NEXT) | instid1(VALU_DEP_3)
	v_ashrrev_i32_e32 v43, 31, v42
	v_add_co_u32 v62, vcc_lo, s24, v56
	s_delay_alu instid0(VALU_DEP_4) | instskip(SKIP_1) | instid1(VALU_DEP_4)
	v_add_co_ci_u32_e32 v63, vcc_lo, s25, v57, vcc_lo
	v_add_co_u32 v44, vcc_lo, s24, v52
	v_lshlrev_b64 v[42:43], 3, v[42:43]
	v_add_co_ci_u32_e32 v45, vcc_lo, s25, v53, vcc_lo
	global_load_b64 v[62:63], v[62:63], off
	v_fma_f64 v[145:146], v[124:125], v[96:97], s[36:37]
	v_fma_f64 v[2:3], v[20:21], v[72:73], 1.0
	global_load_b64 v[72:73], v[44:45], off
	v_add_co_u32 v44, vcc_lo, s24, v42
	v_add_co_ci_u32_e32 v45, vcc_lo, s25, v43, vcc_lo
	v_add_co_u32 v66, vcc_lo, s24, v54
	v_add_co_ci_u32_e32 v67, vcc_lo, s25, v55, vcc_lo
	v_fma_f64 v[20:21], v[80:81], s[28:29], v[50:51]
	global_load_b64 v[64:65], v[44:45], off
	v_fma_f64 v[30:31], v[40:41], v[30:31], 1.0
	global_load_b64 v[66:67], v[66:67], off
	v_lshlrev_b64 v[44:45], 3, v[82:83]
	v_fma_f64 v[82:83], v[126:127], s[20:21], s[16:17]
	s_delay_alu instid0(VALU_DEP_2) | instskip(NEXT) | instid1(VALU_DEP_3)
	v_add_co_u32 v118, vcc_lo, s24, v44
	v_add_co_ci_u32_e32 v119, vcc_lo, s25, v45, vcc_lo
	global_load_b64 v[68:69], v[118:119], off
	v_ldexp_f64 v[132:133], v[2:3], v132
	v_ashrrev_i32_e32 v2, 31, v1
	v_fma_f64 v[118:119], v[80:81], s[26:27], v[20:21]
	s_delay_alu instid0(VALU_DEP_2) | instskip(SKIP_2) | instid1(VALU_DEP_3)
	v_lshlrev_b64 v[20:21], 3, v[1:2]
	v_fma_f64 v[136:137], v[40:41], v[30:31], 1.0
	v_fma_f64 v[2:3], v[126:127], v[82:83], s[14:15]
	v_add_co_u32 v82, vcc_lo, s24, v20
	s_delay_alu instid0(VALU_DEP_4)
	v_add_co_ci_u32_e32 v83, vcc_lo, s25, v21, vcc_lo
	v_add_co_u32 v134, vcc_lo, s24, v18
	v_add_co_ci_u32_e32 v135, vcc_lo, s25, v19, vcc_lo
	v_add_co_u32 v140, vcc_lo, s24, v12
	v_add_co_ci_u32_e32 v141, vcc_lo, s25, v13, vcc_lo
	v_cmp_nlt_f64_e32 vcc_lo, 0x40900000, v[16:17]
	s_clause 0x2
	global_load_b64 v[40:41], v[82:83], off
	global_load_b64 v[30:31], v[134:135], off
	;; [unrolled: 1-line block ×3, first 2 shown]
	v_fma_f64 v[82:83], v[120:121], v[86:87], s[18:19]
	v_cvt_f32_f64_e32 v134, v[76:77]
	v_fma_f64 v[86:87], v[106:107], v[90:91], s[30:31]
	v_fma_f64 v[90:91], v[122:123], v[130:131], s[18:19]
	;; [unrolled: 1-line block ×3, first 2 shown]
	v_ldexp_f64 v[130:131], v[136:137], v142
	v_fma_f64 v[2:3], v[126:127], v[2:3], s[10:11]
	v_cndmask_b32_e32 v133, 0x7ff00000, v133, vcc_lo
	s_and_b32 vcc_lo, s0, vcc_lo
	v_fma_f64 v[82:83], v[120:121], v[82:83], s[30:31]
	v_cndmask_b32_e32 v132, 0, v132, vcc_lo
	v_cmp_nlt_f64_e32 vcc_lo, 0x40900000, v[14:15]
	v_cndmask_b32_e64 v133, 0, v133, s0
	v_cmp_ngt_f64_e64 s0, 0xc090cc00, v[14:15]
	v_fma_f64 v[86:87], v[106:107], v[86:87], s[34:35]
	v_fma_f64 v[90:91], v[122:123], v[90:91], s[30:31]
	s_waitcnt vmcnt(8)
	v_mul_f64 v[14:15], v[26:27], s[38:39]
	v_fma_f64 v[16:17], v[118:119], v[16:17], s[14:15]
	v_fma_f64 v[76:77], v[126:127], v[2:3], s[12:13]
	v_cvt_f64_f32_e32 v[2:3], v134
	v_fma_f64 v[82:83], v[120:121], v[82:83], s[34:35]
	v_fma_f64 v[86:87], v[106:107], v[86:87], s[36:37]
	;; [unrolled: 1-line block ×5, first 2 shown]
	v_rndne_f64_e32 v[76:77], v[14:15]
	v_fma_f64 v[82:83], v[120:121], v[82:83], s[36:37]
	v_fma_f64 v[86:87], v[106:107], v[86:87], s[40:41]
	;; [unrolled: 1-line block ×5, first 2 shown]
	v_cvt_f32_f64_e32 v134, v[138:139]
	v_cndmask_b32_e32 v136, 0x7ff00000, v131, vcc_lo
	v_mul_f64 v[131:132], v[132:133], v[2:3]
	v_fma_f64 v[137:138], v[112:113], v[102:103], s[40:41]
	s_and_b32 vcc_lo, s0, vcc_lo
	v_fma_f64 v[139:140], v[114:115], v[78:79], s[40:41]
	v_cndmask_b32_e64 v136, 0, v136, s0
	v_cndmask_b32_e32 v135, 0, v130, vcc_lo
	v_cmp_nlt_f64_e64 s0, 0x40900000, v[74:75]
	s_delay_alu instid0(VALU_DEP_2)
	v_mul_f64 v[135:136], v[135:136], v[2:3]
	v_fma_f64 v[141:142], v[106:107], v[86:87], 1.0
	v_fma_f64 v[143:144], v[122:123], v[90:91], s[40:41]
	v_fma_f64 v[16:17], v[118:119], v[16:17], s[18:19]
	;; [unrolled: 1-line block ×3, first 2 shown]
	v_cvt_f32_f64_e32 v147, v[131:132]
	v_fma_f64 v[130:131], v[76:77], s[28:29], v[26:27]
	v_fma_f64 v[137:138], v[112:113], v[137:138], 1.0
	v_add_co_u32 v132, vcc_lo, s22, v4
	v_add_co_ci_u32_e32 v133, vcc_lo, s23, v5, vcc_lo
	v_add_co_u32 v102, vcc_lo, s22, v6
	v_add_co_ci_u32_e32 v103, vcc_lo, s23, v7, vcc_lo
	v_add_co_u32 v78, vcc_lo, s22, v8
	v_fma_f64 v[4:5], v[120:121], v[82:83], s[40:41]
	v_add_co_ci_u32_e32 v79, vcc_lo, s23, v9, vcc_lo
	v_add_co_u32 v96, vcc_lo, s22, v48
	v_add_co_ci_u32_e32 v97, vcc_lo, s23, v49, vcc_lo
	v_cmp_eq_u32_e32 vcc_lo, 4, v0
	v_add_nc_u32_e32 v48, 0x2cc4c, v1
	v_fma_f64 v[139:140], v[114:115], v[139:140], 1.0
	v_cvt_f32_f64_e32 v148, v[135:136]
	v_fma_f64 v[94:95], v[106:107], v[141:142], 1.0
	s_delay_alu instid0(VALU_DEP_4)
	v_ashrrev_i32_e32 v49, 31, v48
	v_fma_f64 v[16:17], v[118:119], v[16:17], s[30:31]
	v_fma_f64 v[14:15], v[126:127], v[14:15], s[36:37]
	v_sub_f32_e32 v6, v134, v147
	v_fma_f64 v[86:87], v[76:77], s[26:27], v[130:131]
	v_fma_f64 v[130:131], v[122:123], v[143:144], 1.0
	s_delay_alu instid0(VALU_DEP_3) | instskip(SKIP_2) | instid1(VALU_DEP_3)
	v_cndmask_b32_e64 v6, -v147, v6, vcc_lo
	v_add_co_u32 v82, vcc_lo, s22, v24
	v_add_co_ci_u32_e32 v83, vcc_lo, s23, v25, vcc_lo
	v_cvt_f64_f32_e32 v[24:25], v6
	v_add_nc_u32_e32 v6, 0x2aa30, v1
	v_add_co_u32 v90, vcc_lo, s22, v58
	v_add_co_ci_u32_e32 v91, vcc_lo, s23, v59, vcc_lo
	s_delay_alu instid0(VALU_DEP_3)
	v_ashrrev_i32_e32 v7, 31, v6
	v_fma_f64 v[58:59], v[120:121], v[4:5], 1.0
	v_add_nc_u32_e32 v4, 0x2ee68, v1
	v_cvt_i32_f64_e32 v147, v[88:89]
	v_cmp_eq_u32_e32 vcc_lo, 5, v0
	v_lshlrev_b64 v[8:9], 3, v[6:7]
	v_lshlrev_b64 v[6:7], 3, v[48:49]
	v_fma_f64 v[48:49], v[112:113], v[137:138], 1.0
	v_cvt_i32_f64_e32 v112, v[98:99]
	s_waitcnt vmcnt(7)
	v_mul_f64 v[135:136], v[62:63], s[38:39]
	v_fma_f64 v[98:99], v[114:115], v[139:140], 1.0
	v_fma_f64 v[139:140], v[124:125], v[145:146], s[40:41]
	v_ashrrev_i32_e32 v5, 31, v4
	v_cvt_i32_f64_e32 v146, v[108:109]
	v_fma_f64 v[137:138], v[118:119], v[16:17], s[34:35]
	v_cvt_i32_f64_e32 v145, v[104:105]
	s_delay_alu instid0(VALU_DEP_4)
	v_lshlrev_b64 v[4:5], 3, v[4:5]
	v_fma_f64 v[143:144], v[126:127], v[14:15], s[40:41]
	s_waitcnt vmcnt(6)
	v_mul_f64 v[141:142], v[72:73], s[38:39]
	s_waitcnt vmcnt(5)
	v_mul_f64 v[104:105], v[64:65], s[38:39]
	global_store_b64 v[132:133], v[24:25], off
	v_fma_f64 v[132:133], v[86:87], s[20:21], s[16:17]
	v_fma_f64 v[108:109], v[120:121], v[58:59], 1.0
	v_fma_f64 v[120:121], v[122:123], v[130:131], 1.0
	v_ldexp_f64 v[130:131], v[94:95], v147
	v_ldexp_f64 v[114:115], v[48:49], v149
	v_sub_f32_e32 v88, v134, v148
	v_ldexp_f64 v[112:113], v[98:99], v112
	v_fma_f64 v[122:123], v[124:125], v[139:140], 1.0
	s_delay_alu instid0(VALU_DEP_3)
	v_cndmask_b32_e64 v16, -v148, v88, vcc_lo
	v_add_co_u32 v88, vcc_lo, s22, v84
	v_add_co_ci_u32_e32 v89, vcc_lo, s23, v85, vcc_lo
	v_add_co_u32 v14, vcc_lo, s24, v8
	v_add_co_ci_u32_e32 v15, vcc_lo, s25, v9, vcc_lo
	v_cvt_i32_f64_e32 v148, v[116:117]
	s_waitcnt vmcnt(4)
	v_mul_f64 v[116:117], v[66:67], s[38:39]
	v_cvt_f64_f32_e32 v[106:107], v16
	v_add_co_u32 v16, vcc_lo, s24, v6
	v_add_co_ci_u32_e32 v17, vcc_lo, s25, v7, vcc_lo
	v_add_co_u32 v58, vcc_lo, s24, v4
	v_add_co_ci_u32_e32 v59, vcc_lo, s25, v5, vcc_lo
	s_clause 0x2
	global_load_b64 v[24:25], v[14:15], off
	global_load_b64 v[16:17], v[16:17], off
	;; [unrolled: 1-line block ×3, first 2 shown]
	s_waitcnt vmcnt(6)
	v_mul_f64 v[58:59], v[68:69], s[38:39]
	v_rndne_f64_e32 v[84:85], v[135:136]
	v_fma_f64 v[135:136], v[118:119], v[137:138], s[36:37]
	v_fma_f64 v[132:133], v[86:87], v[132:133], s[14:15]
	v_fma_f64 v[137:138], v[126:127], v[143:144], 1.0
	v_rndne_f64_e32 v[98:99], v[141:142]
	v_rndne_f64_e32 v[94:95], v[104:105]
	v_cndmask_b32_e64 v131, 0x7ff00000, v131, s5
	s_and_b32 s5, s6, s5
	v_cmp_nlt_f64_e32 vcc_lo, 0x40900000, v[92:93]
	v_cndmask_b32_e64 v128, 0, v130, s5
	v_cmp_nlt_f64_e64 s5, 0x40900000, v[100:101]
	v_cndmask_b32_e64 v129, 0, v131, s6
	v_cmp_ngt_f64_e64 s6, 0xc090cc00, v[100:101]
	v_fma_f64 v[122:123], v[124:125], v[122:123], 1.0
	v_cndmask_b32_e64 v113, 0x7ff00000, v113, s0
	s_delay_alu instid0(VALU_DEP_4)
	v_mul_f64 v[128:129], v[128:129], v[2:3]
	v_rndne_f64_e32 v[48:49], v[116:117]
	v_ldexp_f64 v[116:117], v[108:109], v145
	v_rndne_f64_e32 v[58:59], v[58:59]
	v_fma_f64 v[104:105], v[84:85], s[28:29], v[62:63]
	v_fma_f64 v[124:125], v[118:119], v[135:136], s[40:41]
	;; [unrolled: 1-line block ×3, first 2 shown]
	v_fma_f64 v[137:138], v[126:127], v[137:138], 1.0
	v_cvt_i32_f64_e32 v132, v[110:111]
	v_ldexp_f64 v[110:111], v[120:121], v146
	v_fma_f64 v[139:140], v[98:99], s[28:29], v[72:73]
	v_fma_f64 v[141:142], v[94:95], s[28:29], v[64:65]
	v_cndmask_b32_e32 v115, 0x7ff00000, v115, vcc_lo
	s_and_b32 vcc_lo, s1, vcc_lo
	v_cvt_i32_f64_e32 v149, v[98:99]
	v_cndmask_b32_e32 v114, 0, v114, vcc_lo
	s_and_b32 vcc_lo, s2, s0
	v_cmp_ngt_f64_e64 s0, 0xc090cc00, v[70:71]
	v_cndmask_b32_e64 v115, 0, v115, s1
	v_fma_f64 v[32:33], v[48:49], s[28:29], v[66:67]
	v_cndmask_b32_e64 v117, 0x7ff00000, v117, s3
	v_fma_f64 v[126:127], v[58:59], s[28:29], v[68:69]
	v_fma_f64 v[92:93], v[84:85], s[26:27], v[104:105]
	v_fma_f64 v[124:125], v[118:119], v[124:125], 1.0
	v_fma_f64 v[120:121], v[86:87], v[135:136], s[12:13]
	v_add_nc_u32_e32 v135, 0x31084, v1
	v_ldexp_f64 v[108:109], v[137:138], v148
	v_ldexp_f64 v[122:123], v[122:123], v132
	v_fma_f64 v[104:105], v[98:99], s[26:27], v[139:140]
	v_fma_f64 v[74:75], v[94:95], s[26:27], v[141:142]
	v_ashrrev_i32_e32 v136, 31, v135
	v_cvt_f32_f64_e32 v137, v[128:129]
	v_fma_f64 v[130:131], v[48:49], s[26:27], v[32:33]
	s_delay_alu instid0(VALU_DEP_3) | instskip(SKIP_1) | instid1(VALU_DEP_2)
	v_lshlrev_b64 v[32:33], 3, v[135:136]
	v_cndmask_b32_e64 v135, 0x7ff00000, v111, s5
	v_add_co_u32 v100, s7, s24, v32
	s_delay_alu instid0(VALU_DEP_1)
	v_add_co_ci_u32_e64 v101, s7, s25, v33, s7
	v_cmp_nlt_f64_e64 s7, 0x40900000, v[60:61]
	v_fma_f64 v[126:127], v[58:59], s[26:27], v[126:127]
	v_fma_f64 v[132:133], v[92:93], s[20:21], s[16:17]
	global_load_b64 v[60:61], v[100:101], off
	v_fma_f64 v[120:121], v[86:87], v[120:121], s[18:19]
	v_cndmask_b32_e32 v100, 0, v112, vcc_lo
	s_and_b32 vcc_lo, s4, s3
	v_fma_f64 v[118:119], v[118:119], v[124:125], 1.0
	v_fma_f64 v[124:125], v[104:105], s[20:21], s[16:17]
	v_fma_f64 v[111:112], v[74:75], s[20:21], s[16:17]
	v_cndmask_b32_e64 v101, 0, v113, s2
	v_mul_f64 v[113:114], v[114:115], v[2:3]
	v_cmp_ngt_f64_e64 s2, 0xc090cc00, v[72:73]
	s_delay_alu instid0(VALU_DEP_3)
	v_mul_f64 v[100:101], v[100:101], v[2:3]
	v_cndmask_b32_e64 v141, 0x7ff00000, v109, s7
	v_cvt_i32_f64_e32 v109, v[80:81]
	v_cndmask_b32_e32 v80, 0, v116, vcc_lo
	v_cmp_nlt_f64_e32 vcc_lo, 0x40900000, v[70:71]
	v_fma_f64 v[70:71], v[126:127], s[20:21], s[16:17]
	v_cndmask_b32_e64 v81, 0, v117, s4
	v_fma_f64 v[116:117], v[130:131], s[20:21], s[16:17]
	v_fma_f64 v[120:121], v[86:87], v[120:121], s[30:31]
	;; [unrolled: 1-line block ×4, first 2 shown]
	v_mul_f64 v[80:81], v[80:81], v[2:3]
	s_and_b32 s1, s8, s7
	v_cmp_ngt_f64_e64 s4, 0xc090cc00, v[64:65]
	v_cmp_nlt_f64_e64 s7, 0x40900000, v[68:69]
	v_cvt_f32_f64_e32 v142, v[100:101]
	v_cndmask_b32_e32 v136, 0x7ff00000, v123, vcc_lo
	v_fma_f64 v[70:71], v[126:127], v[70:71], s[14:15]
	v_fma_f64 v[123:124], v[104:105], v[124:125], s[14:15]
	;; [unrolled: 1-line block ×5, first 2 shown]
	s_and_b32 vcc_lo, s0, vcc_lo
	v_cndmask_b32_e64 v133, 0, v136, s0
	v_cndmask_b32_e32 v132, 0, v122, vcc_lo
	s_and_b32 vcc_lo, s6, s5
	v_cvt_f32_f64_e32 v122, v[113:114]
	v_cndmask_b32_e64 v114, 0, v135, s6
	v_cndmask_b32_e32 v113, 0, v110, vcc_lo
	v_add_co_u32 v135, vcc_lo, s22, v28
	v_add_co_ci_u32_e32 v136, vcc_lo, s23, v29, vcc_lo
	v_sub_f32_e32 v28, v134, v137
	v_cmp_eq_u32_e32 vcc_lo, 6, v0
	v_fma_f64 v[111:112], v[74:75], v[111:112], s[10:11]
	v_mul_f64 v[132:133], v[132:133], v[2:3]
	v_mul_f64 v[113:114], v[113:114], v[2:3]
	v_cvt_f32_f64_e32 v143, v[80:81]
	v_cmp_ngt_f64_e64 s0, 0xc090cc00, v[50:51]
	v_cmp_nlt_f64_e64 s5, 0x40900000, v[66:67]
	v_cmp_ngt_f64_e64 s6, 0xc090cc00, v[66:67]
	v_fma_f64 v[70:71], v[126:127], v[70:71], s[10:11]
	v_fma_f64 v[123:124], v[104:105], v[123:124], s[10:11]
	;; [unrolled: 1-line block ×5, first 2 shown]
	v_sub_f32_e32 v80, v134, v122
	v_fma_f64 v[111:112], v[74:75], v[111:112], s[12:13]
	v_cvt_f32_f64_e32 v145, v[132:133]
	v_cvt_f32_f64_e32 v146, v[113:114]
	v_fma_f64 v[70:71], v[126:127], v[70:71], s[12:13]
	v_fma_f64 v[123:124], v[104:105], v[123:124], s[12:13]
	;; [unrolled: 1-line block ×3, first 2 shown]
	v_ldexp_f64 v[117:118], v[118:119], v109
	v_cndmask_b32_e64 v119, -v137, v28, vcc_lo
	v_add_nc_u32_e32 v109, 0x332a0, v1
	v_fma_f64 v[120:121], v[86:87], v[120:121], s[40:41]
	s_waitcnt vmcnt(6)
	v_mul_f64 v[137:138], v[40:41], s[38:39]
	v_fma_f64 v[128:129], v[92:93], v[128:129], s[18:19]
	v_cvt_f64_f32_e32 v[100:101], v119
	v_ashrrev_i32_e32 v110, 31, v109
	s_delay_alu instid0(VALU_DEP_1) | instskip(SKIP_2) | instid1(VALU_DEP_3)
	v_lshlrev_b64 v[28:29], 3, v[109:110]
	v_fma_f64 v[111:112], v[74:75], v[111:112], s[18:19]
	v_fma_f64 v[139:140], v[126:127], v[70:71], s[18:19]
	v_add_co_u32 v70, vcc_lo, s24, v28
	s_delay_alu instid0(VALU_DEP_4)
	v_add_co_ci_u32_e32 v71, vcc_lo, s25, v29, vcc_lo
	v_cmp_nlt_f64_e32 vcc_lo, 0x40900000, v[50:51]
	v_cndmask_b32_e64 v50, 0, v108, s1
	v_cmp_eq_u32_e64 s1, 7, v0
	v_fma_f64 v[123:124], v[104:105], v[123:124], s[18:19]
	v_fma_f64 v[109:110], v[86:87], v[120:121], 1.0
	s_waitcnt vmcnt(4)
	v_mul_f64 v[120:121], v[34:35], s[38:39]
	v_fma_f64 v[115:116], v[130:131], v[115:116], s[18:19]
	v_cndmask_b32_e64 v80, -v122, v80, s1
	v_cmp_eq_u32_e64 s1, 8, v0
	v_fma_f64 v[128:129], v[92:93], v[128:129], s[30:31]
	v_cndmask_b32_e64 v51, 0, v141, s8
	global_load_b64 v[70:71], v[70:71], off
	v_cvt_f64_f32_e32 v[113:114], v80
	global_store_b64 v[78:79], v[100:101], off
	v_sub_f32_e32 v78, v134, v142
	v_rndne_f64_e32 v[80:81], v[137:138]
	v_sub_f32_e32 v79, v134, v143
	v_sub_f32_e32 v101, v134, v145
	v_fma_f64 v[111:112], v[74:75], v[111:112], s[30:31]
	v_cndmask_b32_e64 v78, -v142, v78, s1
	v_cmp_eq_u32_e64 s1, 9, v0
	v_mul_f64 v[50:51], v[50:51], v[2:3]
	v_add_nc_u32_e32 v100, 0x376d8, v1
	v_cmp_ngt_f64_e64 s8, 0xc090cc00, v[68:69]
	v_cvt_f64_f32_e32 v[137:138], v78
	v_cndmask_b32_e64 v79, -v143, v79, s1
	v_cvt_i32_f64_e32 v143, v[76:77]
	v_cmp_eq_u32_e64 s1, 13, v0
	s_delay_alu instid0(VALU_DEP_3)
	v_cvt_f64_f32_e32 v[141:142], v79
	v_cndmask_b32_e32 v144, 0x7ff00000, v118, vcc_lo
	s_and_b32 vcc_lo, s0, vcc_lo
	s_waitcnt vmcnt(4)
	v_mul_f64 v[118:119], v[24:25], s[38:39]
	v_cndmask_b32_e32 v132, 0, v117, vcc_lo
	v_cmp_eq_u32_e32 vcc_lo, 10, v0
	v_rndne_f64_e32 v[76:77], v[120:121]
	v_fma_f64 v[115:116], v[130:131], v[115:116], s[30:31]
	v_fma_f64 v[108:109], v[86:87], v[109:110], 1.0
	v_cndmask_b32_e64 v133, 0, v144, s0
	v_cndmask_b32_e64 v101, -v145, v101, vcc_lo
	v_cmp_ngt_f64_e64 s0, 0xc090cc00, v[26:27]
	v_cvt_i32_f64_e32 v145, v[84:85]
	global_store_b64 v[96:97], v[113:114], off
	v_cvt_f64_f32_e32 v[120:121], v101
	v_ashrrev_i32_e32 v101, 31, v100
	v_fma_f64 v[96:97], v[80:81], s[28:29], v[40:41]
	v_cvt_f32_f64_e32 v144, v[50:51]
	s_clause 0x1
	global_store_b64 v[82:83], v[137:138], off
	global_store_b64 v[102:103], v[106:107], off
	v_fma_f64 v[106:107], v[104:105], v[123:124], s[30:31]
	v_mul_f64 v[102:103], v[22:23], s[38:39]
	v_fma_f64 v[122:123], v[126:127], v[139:140], s[30:31]
	v_fma_f64 v[124:125], v[92:93], v[128:129], s[34:35]
	global_store_b64 v[90:91], v[141:142], off
	v_add_nc_u32_e32 v128, 0x354bc, v1
	s_waitcnt vmcnt(3)
	v_mul_f64 v[139:140], v[16:17], s[38:39]
	s_delay_alu instid0(VALU_DEP_2)
	v_ashrrev_i32_e32 v129, 31, v128
	v_rndne_f64_e32 v[78:79], v[118:119]
	v_add_co_u32 v118, vcc_lo, s22, v36
	v_add_co_ci_u32_e32 v119, vcc_lo, s23, v37, vcc_lo
	v_cmp_eq_u32_e32 vcc_lo, 11, v0
	v_lshlrev_b64 v[36:37], 3, v[128:129]
	v_ldexp_f64 v[108:109], v[108:109], v143
	global_store_b64 v[88:89], v[120:121], off
	s_waitcnt vmcnt(2)
	v_mul_f64 v[120:121], v[14:15], s[38:39]
	v_fma_f64 v[96:97], v[80:81], s[26:27], v[96:97]
	v_fma_f64 v[106:107], v[104:105], v[106:107], s[34:35]
	v_rndne_f64_e32 v[86:87], v[102:103]
	v_fma_f64 v[102:103], v[74:75], v[111:112], s[34:35]
	v_fma_f64 v[110:111], v[130:131], v[115:116], s[34:35]
	;; [unrolled: 1-line block ×3, first 2 shown]
	v_sub_f32_e32 v122, v134, v146
	v_mul_f64 v[114:115], v[132:133], v[2:3]
	v_fma_f64 v[116:117], v[92:93], v[124:125], s[36:37]
	v_rndne_f64_e32 v[82:83], v[139:140]
	s_delay_alu instid0(VALU_DEP_4)
	v_cndmask_b32_e64 v124, -v146, v122, vcc_lo
	v_mul_f64 v[122:123], v[30:31], s[38:39]
	v_add_co_u32 v50, vcc_lo, s24, v36
	v_add_co_ci_u32_e32 v51, vcc_lo, s25, v37, vcc_lo
	v_add_co_u32 v128, vcc_lo, s22, v38
	v_add_co_ci_u32_e32 v129, vcc_lo, s23, v39, vcc_lo
	v_lshlrev_b64 v[38:39], 3, v[100:101]
	v_sub_f32_e32 v100, v134, v144
	v_cvt_f64_f32_e32 v[124:125], v124
	v_fma_f64 v[137:138], v[78:79], s[28:29], v[24:25]
	global_load_b64 v[50:51], v[50:51], off
	v_add_co_u32 v88, vcc_lo, s24, v38
	v_add_co_ci_u32_e32 v89, vcc_lo, s25, v39, vcc_lo
	v_fma_f64 v[106:107], v[104:105], v[106:107], s[36:37]
	v_fma_f64 v[90:91], v[86:87], s[28:29], v[22:23]
	;; [unrolled: 1-line block ×4, first 2 shown]
	v_add_co_u32 v110, vcc_lo, s22, v46
	v_add_co_ci_u32_e32 v111, vcc_lo, s23, v47, vcc_lo
	v_cmp_eq_u32_e32 vcc_lo, 12, v0
	v_cvt_f32_f64_e32 v141, v[114:115]
	v_fma_f64 v[114:115], v[76:77], s[28:29], v[34:35]
	v_fma_f64 v[112:113], v[126:127], v[112:113], s[36:37]
	global_load_b64 v[46:47], v[88:89], off
	v_cndmask_b32_e64 v100, -v144, v100, vcc_lo
	v_rndne_f64_e32 v[88:89], v[122:123]
	v_fma_f64 v[116:117], v[92:93], v[116:117], s[40:41]
	v_cmp_nlt_f64_e32 vcc_lo, 0x40900000, v[26:27]
	s_waitcnt vmcnt(3)
	v_mul_f64 v[26:27], v[60:61], s[38:39]
	v_cvt_f64_f32_e32 v[122:123], v100
	global_store_b64 v[135:136], v[124:125], off
	v_fma_f64 v[124:125], v[82:83], s[28:29], v[16:17]
	v_cvt_i32_f64_e32 v135, v[94:95]
	v_fma_f64 v[106:107], v[104:105], v[106:107], s[40:41]
	v_fma_f64 v[90:91], v[86:87], s[26:27], v[90:91]
	v_fma_f64 v[139:140], v[74:75], v[102:103], s[40:41]
	v_fma_f64 v[132:133], v[130:131], v[132:133], s[40:41]
	v_fma_f64 v[102:103], v[78:79], s[26:27], v[137:138]
	v_sub_f32_e32 v84, v134, v141
	v_fma_f64 v[100:101], v[76:77], s[26:27], v[114:115]
	v_fma_f64 v[112:113], v[126:127], v[112:113], s[40:41]
	s_delay_alu instid0(VALU_DEP_3)
	v_cndmask_b32_e64 v136, -v141, v84, s1
	v_fma_f64 v[114:115], v[92:93], v[116:117], 1.0
	v_rndne_f64_e32 v[84:85], v[120:121]
	v_cndmask_b32_e32 v109, 0x7ff00000, v109, vcc_lo
	global_store_b64 v[118:119], v[122:123], off
	v_fma_f64 v[118:119], v[88:89], s[28:29], v[30:31]
	s_and_b32 vcc_lo, s0, vcc_lo
	v_fma_f64 v[116:117], v[96:97], s[20:21], s[16:17]
	v_cndmask_b32_e64 v109, 0, v109, s0
	v_cndmask_b32_e32 v108, 0, v108, vcc_lo
	v_fma_f64 v[98:99], v[82:83], s[26:27], v[124:125]
	v_cvt_f64_f32_e32 v[141:142], v136
	v_rndne_f64_e32 v[94:95], v[26:27]
	v_cvt_i32_f64_e32 v136, v[48:49]
	v_mul_f64 v[108:109], v[108:109], v[2:3]
	v_add_nc_u32_e32 v26, 0x398f4, v1
	v_cmp_ngt_f64_e64 s0, 0xc090cc00, v[62:63]
	v_cmp_nlt_f64_e64 s1, 0x40900000, v[72:73]
	s_delay_alu instid0(VALU_DEP_3)
	v_ashrrev_i32_e32 v27, 31, v26
	v_fma_f64 v[106:107], v[104:105], v[106:107], 1.0
	v_fma_f64 v[120:121], v[90:91], s[20:21], s[16:17]
	v_fma_f64 v[122:123], v[74:75], v[139:140], 1.0
	v_fma_f64 v[124:125], v[130:131], v[132:133], 1.0
	v_fma_f64 v[132:133], v[102:103], s[20:21], s[16:17]
	v_lshlrev_b64 v[26:27], 3, v[26:27]
	v_fma_f64 v[137:138], v[100:101], s[20:21], s[16:17]
	v_fma_f64 v[112:113], v[126:127], v[112:113], 1.0
	s_delay_alu instid0(VALU_DEP_3) | instskip(NEXT) | instid1(VALU_DEP_4)
	v_add_co_u32 v48, vcc_lo, s24, v26
	v_add_co_ci_u32_e32 v49, vcc_lo, s25, v27, vcc_lo
	v_fma_f64 v[114:115], v[92:93], v[114:115], 1.0
	v_cmp_eq_u32_e32 vcc_lo, 14, v0
	v_fma_f64 v[139:140], v[96:97], v[116:117], s[14:15]
	v_fma_f64 v[143:144], v[104:105], v[106:107], 1.0
	v_fma_f64 v[106:107], v[88:89], s[26:27], v[118:119]
	v_fma_f64 v[120:121], v[90:91], v[120:121], s[14:15]
	v_fma_f64 v[116:117], v[74:75], v[122:123], 1.0
	v_fma_f64 v[122:123], v[102:103], v[132:133], s[14:15]
	v_cvt_f32_f64_e32 v132, v[108:109]
	v_fma_f64 v[92:93], v[130:131], v[124:125], 1.0
	v_fma_f64 v[104:105], v[84:85], s[28:29], v[14:15]
	v_fma_f64 v[118:119], v[98:99], s[20:21], s[16:17]
	;; [unrolled: 1-line block ×3, first 2 shown]
	v_fma_f64 v[112:113], v[126:127], v[112:113], 1.0
	v_fma_f64 v[126:127], v[100:101], v[137:138], s[14:15]
	v_cvt_i32_f64_e32 v137, v[58:59]
	v_ldexp_f64 v[74:75], v[114:115], v145
	v_fma_f64 v[130:131], v[96:97], v[139:140], s[10:11]
	v_fma_f64 v[58:59], v[106:107], s[20:21], s[16:17]
	;; [unrolled: 1-line block ×3, first 2 shown]
	v_ldexp_f64 v[116:117], v[116:117], v135
	v_fma_f64 v[147:148], v[102:103], v[122:123], s[10:11]
	v_sub_f32_e32 v114, v134, v132
	v_ldexp_f64 v[135:136], v[92:93], v136
	v_fma_f64 v[108:109], v[84:85], s[26:27], v[104:105]
	v_fma_f64 v[138:139], v[98:99], v[118:119], s[14:15]
	;; [unrolled: 1-line block ×3, first 2 shown]
	v_cndmask_b32_e64 v114, -v132, v114, vcc_lo
	v_cmp_nlt_f64_e32 vcc_lo, 0x40900000, v[62:63]
	v_fma_f64 v[124:125], v[100:101], v[126:127], s[10:11]
	v_ldexp_f64 v[118:119], v[143:144], v149
	v_ldexp_f64 v[112:113], v[112:113], v137
	v_cvt_f64_f32_e32 v[114:115], v114
	global_store_b64 v[128:129], v[141:142], off
	v_fma_f64 v[122:123], v[96:97], v[130:131], s[12:13]
	v_fma_f64 v[120:121], v[106:107], v[58:59], s[14:15]
	v_add_nc_u32_e32 v58, 0x3bb10, v1
	v_fma_f64 v[126:127], v[90:91], v[145:146], s[12:13]
	v_fma_f64 v[128:129], v[102:103], v[147:148], s[12:13]
	s_delay_alu instid0(VALU_DEP_3)
	v_ashrrev_i32_e32 v59, 31, v58
	v_fma_f64 v[132:133], v[108:109], s[20:21], s[16:17]
	v_fma_f64 v[130:131], v[98:99], v[138:139], s[10:11]
	;; [unrolled: 1-line block ×3, first 2 shown]
	v_cndmask_b32_e32 v75, 0x7ff00000, v75, vcc_lo
	v_lshlrev_b64 v[58:59], 3, v[58:59]
	v_fma_f64 v[124:125], v[100:101], v[124:125], s[12:13]
	v_cndmask_b32_e64 v137, 0x7ff00000, v119, s1
	s_and_b32 vcc_lo, s0, vcc_lo
	v_cndmask_b32_e64 v69, 0, v75, s0
	v_cndmask_b32_e32 v68, 0, v74, vcc_lo
	v_add_co_u32 v62, s3, s24, v58
	s_delay_alu instid0(VALU_DEP_1)
	v_add_co_ci_u32_e64 v63, s3, s25, v59, s3
	v_fma_f64 v[122:123], v[96:97], v[122:123], s[18:19]
	v_cmp_nlt_f64_e64 s3, 0x40900000, v[64:65]
	v_add_nc_u32_e32 v74, 0x3dd2c, v1
	s_clause 0x1
	global_load_b64 v[92:93], v[62:63], off
	global_load_b64 v[48:49], v[48:49], off
	s_waitcnt vmcnt(4)
	v_mul_f64 v[66:67], v[70:71], s[38:39]
	s_and_b32 vcc_lo, s2, s1
	v_ashrrev_i32_e32 v75, 31, v74
	v_mul_f64 v[68:69], v[68:69], v[2:3]
	v_cndmask_b32_e64 v113, 0x7ff00000, v113, s7
	global_store_b64 v[110:111], v[114:115], off
	v_cmp_ngt_f64_e64 s0, 0xc090cc00, v[40:41]
	v_fma_f64 v[62:63], v[106:107], v[120:121], s[10:11]
	v_fma_f64 v[126:127], v[90:91], v[126:127], s[18:19]
	;; [unrolled: 1-line block ×6, first 2 shown]
	v_cndmask_b32_e32 v132, 0, v118, vcc_lo
	v_cndmask_b32_e64 v138, 0x7ff00000, v136, s5
	v_fma_f64 v[124:125], v[100:101], v[124:125], s[18:19]
	v_cndmask_b32_e64 v133, 0, v137, s2
	v_cmp_ngt_f64_e64 s2, 0xc090cc00, v[34:35]
	v_fma_f64 v[121:122], v[96:97], v[122:123], s[30:31]
	s_and_b32 vcc_lo, s4, s3
	v_cndmask_b32_e64 v117, 0x7ff00000, v117, s3
	v_cndmask_b32_e32 v136, 0, v116, vcc_lo
	v_cmp_nlt_f64_e64 s3, 0x40900000, v[14:15]
	s_delay_alu instid0(VALU_DEP_3)
	v_cndmask_b32_e64 v137, 0, v117, s4
	v_rndne_f64_e32 v[116:117], v[66:67]
	v_cvt_f32_f64_e32 v140, v[68:69]
	v_cndmask_b32_e64 v69, 0, v113, s8
	v_cmp_ngt_f64_e64 s4, 0xc090cc00, v[14:15]
	v_mul_f64 v[136:137], v[136:137], v[2:3]
	v_fma_f64 v[130:131], v[106:107], v[62:63], s[12:13]
	v_lshlrev_b64 v[62:63], 3, v[74:75]
	v_fma_f64 v[126:127], v[90:91], v[126:127], s[30:31]
	v_fma_f64 v[128:129], v[102:103], v[128:129], s[30:31]
	;; [unrolled: 1-line block ×4, first 2 shown]
	v_add_co_u32 v74, vcc_lo, s24, v62
	v_add_co_ci_u32_e32 v75, vcc_lo, s25, v63, vcc_lo
	v_fma_f64 v[123:124], v[100:101], v[124:125], s[30:31]
	v_fma_f64 v[64:65], v[104:105], v[64:65], s[10:11]
	s_and_b32 vcc_lo, s6, s5
	global_load_b64 v[74:75], v[74:75], off
	v_fma_f64 v[66:67], v[96:97], v[121:122], s[34:35]
	v_mul_f64 v[121:122], v[132:133], v[2:3]
	v_cndmask_b32_e64 v133, 0, v138, s6
	v_cndmask_b32_e32 v132, 0, v135, vcc_lo
	s_and_b32 vcc_lo, s8, s7
	v_cndmask_b32_e32 v68, 0, v112, vcc_lo
	s_delay_alu instid0(VALU_DEP_2)
	v_mul_f64 v[132:133], v[132:133], v[2:3]
	v_fma_f64 v[112:113], v[116:117], s[28:29], v[70:71]
	v_cvt_f32_f64_e32 v137, v[136:137]
	v_fma_f64 v[130:131], v[106:107], v[130:131], s[18:19]
	s_waitcnt vmcnt(4)
	v_mul_f64 v[138:139], v[50:51], s[38:39]
	v_fma_f64 v[125:126], v[90:91], v[126:127], s[34:35]
	v_fma_f64 v[127:128], v[102:103], v[128:129], s[34:35]
	;; [unrolled: 1-line block ×7, first 2 shown]
	v_cvt_f32_f64_e32 v141, v[121:122]
	v_mul_f64 v[120:121], v[68:69], v[2:3]
	s_waitcnt vmcnt(3)
	v_mul_f64 v[135:136], v[46:47], s[38:39]
	v_cvt_f32_f64_e32 v133, v[132:133]
	v_fma_f64 v[68:69], v[116:117], s[26:27], v[112:113]
	v_fma_f64 v[129:130], v[106:107], v[130:131], s[30:31]
	v_add_co_u32 v131, vcc_lo, s22, v56
	v_fma_f64 v[125:126], v[90:91], v[125:126], s[36:37]
	v_add_co_ci_u32_e32 v132, vcc_lo, s23, v57, vcc_lo
	v_fma_f64 v[127:128], v[102:103], v[127:128], s[36:37]
	v_fma_f64 v[72:73], v[108:109], v[72:73], s[18:19]
	;; [unrolled: 1-line block ×3, first 2 shown]
	v_rndne_f64_e32 v[56:57], v[138:139]
	v_sub_f32_e32 v138, v134, v140
	v_cmp_eq_u32_e32 vcc_lo, 15, v0
	v_fma_f64 v[122:123], v[100:101], v[123:124], s[36:37]
	v_fma_f64 v[64:65], v[104:105], v[64:65], s[18:19]
	v_sub_f32_e32 v124, v134, v137
	v_cndmask_b32_e64 v112, -v140, v138, vcc_lo
	v_cmp_eq_u32_e32 vcc_lo, 16, v0
	v_fma_f64 v[66:67], v[96:97], v[66:67], s[40:41]
	v_sub_f32_e32 v113, v134, v141
	v_cvt_f32_f64_e32 v147, v[120:121]
	v_cvt_f64_f32_e32 v[120:121], v112
	s_delay_alu instid0(VALU_DEP_3) | instskip(SKIP_3) | instid1(VALU_DEP_4)
	v_cndmask_b32_e64 v113, -v141, v113, vcc_lo
	v_cmp_eq_u32_e32 vcc_lo, 17, v0
	v_sub_f32_e32 v112, v134, v133
	v_cndmask_b32_e64 v141, -v137, v124, vcc_lo
	v_cvt_f64_f32_e32 v[137:138], v113
	v_cmp_eq_u32_e32 vcc_lo, 18, v0
	v_fma_f64 v[129:130], v[106:107], v[129:130], s[34:35]
	s_delay_alu instid0(VALU_DEP_4)
	v_cvt_f64_f32_e32 v[114:115], v141
	v_cndmask_b32_e64 v133, -v133, v112, vcc_lo
	v_rndne_f64_e32 v[112:113], v[135:136]
	v_fma_f64 v[124:125], v[90:91], v[125:126], s[40:41]
	v_add_co_u32 v110, vcc_lo, s22, v52
	v_fma_f64 v[139:140], v[108:109], v[72:73], s[30:31]
	v_fma_f64 v[118:119], v[98:99], v[118:119], s[36:37]
	v_fma_f64 v[135:136], v[102:103], v[127:128], s[40:41]
	v_cvt_f64_f32_e32 v[141:142], v133
	v_add_co_ci_u32_e32 v111, vcc_lo, s23, v53, vcc_lo
	v_fma_f64 v[143:144], v[100:101], v[122:123], s[40:41]
	v_add_co_u32 v126, vcc_lo, s22, v42
	v_add_co_ci_u32_e32 v127, vcc_lo, s23, v43, vcc_lo
	v_add_co_u32 v145, vcc_lo, s22, v54
	v_fma_f64 v[64:65], v[104:105], v[64:65], s[30:31]
	v_add_co_ci_u32_e32 v146, vcc_lo, s23, v55, vcc_lo
	v_fma_f64 v[42:43], v[56:57], s[28:29], v[50:51]
	v_fma_f64 v[54:55], v[68:69], s[20:21], s[16:17]
	v_add_co_u32 v72, vcc_lo, s22, v44
	v_add_nc_u32_e32 v44, 0x3ff48, v1
	v_fma_f64 v[52:53], v[96:97], v[66:67], 1.0
	v_add_co_ci_u32_e32 v73, vcc_lo, s23, v45, vcc_lo
	v_cmp_eq_u32_e32 vcc_lo, 19, v0
	s_delay_alu instid0(VALU_DEP_4)
	v_ashrrev_i32_e32 v45, 31, v44
	v_add_nc_u32_e32 v128, 0x44380, v1
	s_clause 0x1
	global_store_b64 v[110:111], v[137:138], off
	global_store_b64 v[131:132], v[120:121], off
	v_sub_f32_e32 v120, v134, v147
	v_lshlrev_b64 v[44:45], 3, v[44:45]
	v_fma_f64 v[66:67], v[106:107], v[129:130], s[36:37]
	global_store_b64 v[126:127], v[114:115], off
	v_add_nc_u32_e32 v130, 0x4659c, v1
	v_fma_f64 v[114:115], v[112:113], s[28:29], v[46:47]
	v_fma_f64 v[122:123], v[90:91], v[124:125], 1.0
	v_cndmask_b32_e64 v120, -v147, v120, vcc_lo
	v_ashrrev_i32_e32 v129, 31, v128
	v_fma_f64 v[110:111], v[108:109], v[139:140], s[34:35]
	v_fma_f64 v[126:127], v[98:99], v[118:119], s[40:41]
	v_fma_f64 v[124:125], v[102:103], v[135:136], 1.0
	v_cvt_f64_f32_e32 v[118:119], v120
	v_add_co_u32 v120, vcc_lo, s24, v44
	v_add_co_ci_u32_e32 v121, vcc_lo, s25, v45, vcc_lo
	global_store_b64 v[145:146], v[141:142], off
	v_fma_f64 v[137:138], v[100:101], v[143:144], 1.0
	v_cvt_i32_f64_e32 v141, v[80:81]
	global_load_b64 v[80:81], v[120:121], off
	v_ashrrev_i32_e32 v131, 31, v130
	v_fma_f64 v[135:136], v[104:105], v[64:65], s[34:35]
	v_add_nc_u32_e32 v132, 0x487b8, v1
	v_add_nc_u32_e32 v64, 0x42164, v1
	v_fma_f64 v[120:121], v[56:57], s[26:27], v[42:43]
	v_fma_f64 v[139:140], v[68:69], v[54:55], s[14:15]
	v_lshlrev_b64 v[54:55], 3, v[128:129]
	v_ashrrev_i32_e32 v133, 31, v132
	v_ashrrev_i32_e32 v65, 31, v64
	v_fma_f64 v[96:97], v[96:97], v[52:53], 1.0
	v_lshlrev_b64 v[52:53], 3, v[130:131]
	v_cvt_i32_f64_e32 v142, v[86:87]
	v_lshlrev_b64 v[42:43], 3, v[132:133]
	v_lshlrev_b64 v[64:65], 3, v[64:65]
	v_cvt_i32_f64_e32 v143, v[88:89]
	v_cvt_i32_f64_e32 v144, v[76:77]
	v_fma_f64 v[130:131], v[106:107], v[66:67], s[40:41]
	v_add_co_u32 v66, vcc_lo, s24, v54
	v_add_co_ci_u32_e32 v67, vcc_lo, s25, v55, vcc_lo
	v_fma_f64 v[132:133], v[90:91], v[122:123], 1.0
	v_fma_f64 v[122:123], v[112:113], s[26:27], v[114:115]
	v_fma_f64 v[110:111], v[108:109], v[110:111], s[36:37]
	v_fma_f64 v[126:127], v[98:99], v[126:127], 1.0
	v_add_co_u32 v88, vcc_lo, s24, v52
	global_load_b64 v[86:87], v[66:67], off
	v_add_co_ci_u32_e32 v89, vcc_lo, s25, v53, vcc_lo
	v_add_co_u32 v90, vcc_lo, s24, v42
	v_add_co_ci_u32_e32 v91, vcc_lo, s25, v43, vcc_lo
	v_fma_f64 v[102:103], v[102:103], v[124:125], 1.0
	v_fma_f64 v[124:125], v[100:101], v[137:138], 1.0
	v_add_co_u32 v100, vcc_lo, s24, v64
	v_add_co_ci_u32_e32 v101, vcc_lo, s25, v65, vcc_lo
	s_clause 0x1
	global_load_b64 v[88:89], v[88:89], off
	global_load_b64 v[66:67], v[90:91], off
	v_fma_f64 v[114:115], v[104:105], v[135:136], s[36:37]
	v_fma_f64 v[76:77], v[120:121], s[20:21], s[16:17]
	global_load_b64 v[90:91], v[100:101], off
	v_fma_f64 v[137:138], v[68:69], v[139:140], s[10:11]
	v_ldexp_f64 v[135:136], v[96:97], v141
	v_cmp_nlt_f64_e32 vcc_lo, 0x40900000, v[40:41]
	v_cvt_i32_f64_e32 v141, v[84:85]
	global_store_b64 v[72:73], v[118:119], off
	v_fma_f64 v[130:131], v[106:107], v[130:131], 1.0
	v_fma_f64 v[110:111], v[108:109], v[110:111], s[40:41]
	v_fma_f64 v[100:101], v[98:99], v[126:127], 1.0
	v_fma_f64 v[98:99], v[122:123], s[20:21], s[16:17]
	v_fma_f64 v[114:115], v[104:105], v[114:115], s[40:41]
	;; [unrolled: 1-line block ×4, first 2 shown]
	v_ldexp_f64 v[137:138], v[124:125], v144
	v_cndmask_b32_e32 v136, 0x7ff00000, v136, vcc_lo
	s_and_b32 vcc_lo, s0, vcc_lo
	v_cvt_i32_f64_e32 v144, v[94:95]
	v_add_nc_u32_e32 v94, 0x4cbf0, v1
	v_fma_f64 v[106:107], v[106:107], v[130:131], 1.0
	s_waitcnt vmcnt(7)
	v_mul_f64 v[40:41], v[92:93], s[38:39]
	s_waitcnt vmcnt(6)
	v_mul_f64 v[128:129], v[48:49], s[38:39]
	v_fma_f64 v[130:131], v[108:109], v[110:111], 1.0
	v_fma_f64 v[98:99], v[122:123], v[98:99], s[14:15]
	v_fma_f64 v[114:115], v[104:105], v[114:115], 1.0
	v_fma_f64 v[139:140], v[120:121], v[76:77], s[10:11]
	v_add_nc_u32_e32 v76, 0x4a9d4, v1
	v_fma_f64 v[126:127], v[68:69], v[126:127], s[18:19]
	s_delay_alu instid0(VALU_DEP_2)
	v_ashrrev_i32_e32 v77, 31, v76
	v_rndne_f64_e32 v[96:97], v[128:129]
	v_fma_f64 v[124:125], v[108:109], v[130:131], 1.0
	v_ldexp_f64 v[108:109], v[106:107], v143
	v_rndne_f64_e32 v[106:107], v[40:41]
	v_lshlrev_b64 v[40:41], 3, v[76:77]
	v_ldexp_f64 v[130:131], v[132:133], v142
	v_cvt_i32_f64_e32 v143, v[116:117]
	s_delay_alu instid0(VALU_DEP_3) | instskip(NEXT) | instid1(VALU_DEP_1)
	v_add_co_u32 v76, s1, s24, v40
	v_add_co_ci_u32_e64 v77, s1, s25, v41, s1
	v_cmp_nlt_f64_e64 s1, 0x40900000, v[34:35]
	global_load_b64 v[76:77], v[76:77], off
	s_waitcnt vmcnt(6)
	v_mul_f64 v[34:35], v[74:75], s[38:39]
	v_fma_f64 v[128:129], v[96:97], s[28:29], v[48:49]
	v_cndmask_b32_e64 v138, 0x7ff00000, v138, s1
	s_delay_alu instid0(VALU_DEP_2)
	v_fma_f64 v[110:111], v[96:97], s[26:27], v[128:129]
	v_fma_f64 v[128:129], v[122:123], v[98:99], s[10:11]
	v_fma_f64 v[98:99], v[104:105], v[114:115], 1.0
	v_fma_f64 v[104:105], v[120:121], v[139:140], s[12:13]
	v_fma_f64 v[114:115], v[68:69], v[126:127], s[30:31]
	v_cvt_i32_f64_e32 v139, v[78:79]
	v_cndmask_b32_e64 v79, 0, v136, s0
	v_cndmask_b32_e32 v78, 0, v135, vcc_lo
	v_cmp_nlt_f64_e32 vcc_lo, 0x40900000, v[30:31]
	v_cmp_ngt_f64_e64 s0, 0xc090cc00, v[30:31]
	v_fma_f64 v[30:31], v[106:107], s[28:29], v[92:93]
	v_cvt_i32_f64_e32 v140, v[82:83]
	v_mul_f64 v[78:79], v[78:79], v[2:3]
	v_fma_f64 v[126:127], v[110:111], s[20:21], s[16:17]
	v_fma_f64 v[128:129], v[122:123], v[128:129], s[12:13]
	;; [unrolled: 1-line block ×4, first 2 shown]
	v_rndne_f64_e32 v[104:105], v[34:35]
	v_cndmask_b32_e32 v109, 0x7ff00000, v109, vcc_lo
	s_and_b32 vcc_lo, s0, vcc_lo
	v_fma_f64 v[114:115], v[106:107], s[26:27], v[30:31]
	v_cndmask_b32_e32 v82, 0, v108, vcc_lo
	v_cmp_nlt_f64_e32 vcc_lo, 0x40900000, v[22:23]
	v_cndmask_b32_e64 v83, 0, v109, s0
	v_cmp_ngt_f64_e64 s0, 0xc090cc00, v[22:23]
	v_ldexp_f64 v[100:101], v[100:101], v140
	s_delay_alu instid0(VALU_DEP_3)
	v_mul_f64 v[82:83], v[82:83], v[2:3]
	v_fma_f64 v[34:35], v[110:111], v[126:127], s[14:15]
	v_fma_f64 v[30:31], v[122:123], v[128:129], s[18:19]
	;; [unrolled: 1-line block ×5, first 2 shown]
	v_cvt_f32_f64_e32 v132, v[78:79]
	v_fma_f64 v[22:23], v[114:115], s[20:21], s[16:17]
	v_cndmask_b32_e32 v131, 0x7ff00000, v131, vcc_lo
	s_and_b32 vcc_lo, s0, vcc_lo
	v_cvt_f32_f64_e32 v142, v[82:83]
	s_waitcnt vmcnt(5)
	v_mul_f64 v[82:83], v[80:81], s[38:39]
	v_fma_f64 v[34:35], v[110:111], v[34:35], s[10:11]
	v_fma_f64 v[30:31], v[122:123], v[30:31], s[30:31]
	;; [unrolled: 1-line block ×5, first 2 shown]
	v_cndmask_b32_e64 v129, 0, v138, s2
	v_sub_f32_e32 v116, v134, v132
	v_fma_f64 v[22:23], v[114:115], v[22:23], s[14:15]
	s_waitcnt vmcnt(4)
	v_cmp_ngt_f64_e64 s6, 0xc090cc00, v[86:87]
	v_fma_f64 v[34:35], v[110:111], v[34:35], s[12:13]
	v_fma_f64 v[30:31], v[122:123], v[30:31], s[34:35]
	;; [unrolled: 1-line block ×3, first 2 shown]
	v_fma_f64 v[84:85], v[68:69], v[126:127], 1.0
	v_cndmask_b32_e64 v127, 0, v131, s0
	v_cndmask_b32_e32 v126, 0, v130, vcc_lo
	v_fma_f64 v[130:131], v[108:109], s[20:21], s[16:17]
	s_and_b32 vcc_lo, s2, s1
	v_cmp_ngt_f64_e64 s0, 0xc090cc00, v[24:25]
	v_fma_f64 v[22:23], v[114:115], v[22:23], s[10:11]
	v_cndmask_b32_e32 v128, 0, v137, vcc_lo
	v_cmp_eq_u32_e32 vcc_lo, 0, v0
	v_mul_f64 v[126:127], v[126:127], v[2:3]
	v_cmp_eq_u32_e64 s1, 2, v0
	v_cmp_ngt_f64_e64 s2, 0xc090cc00, v[16:17]
	v_mul_f64 v[128:129], v[128:129], v[2:3]
	v_cndmask_b32_e64 v95, -v132, v116, vcc_lo
	v_ldexp_f64 v[132:133], v[102:103], v139
	v_rndne_f64_e32 v[102:103], v[82:83]
	s_delay_alu instid0(VALU_DEP_3)
	v_cvt_f64_f32_e32 v[116:117], v95
	v_ashrrev_i32_e32 v95, 31, v94
	v_fma_f64 v[34:35], v[110:111], v[34:35], s[18:19]
	v_fma_f64 v[30:31], v[122:123], v[30:31], s[36:37]
	;; [unrolled: 1-line block ×3, first 2 shown]
	v_fma_f64 v[68:69], v[68:69], v[84:85], 1.0
	v_mul_f64 v[84:85], v[86:87], s[38:39]
	v_fma_f64 v[130:131], v[108:109], v[130:131], s[14:15]
	v_fma_f64 v[135:136], v[114:115], v[22:23], s[12:13]
	v_lshlrev_b64 v[22:23], 3, v[94:95]
	v_ldexp_f64 v[94:95], v[124:125], v141
	s_waitcnt vmcnt(3)
	v_mul_f64 v[124:125], v[88:89], s[38:39]
	v_cvt_f32_f64_e32 v140, v[126:127]
	v_cvt_f32_f64_e32 v139, v[128:129]
	s_waitcnt vmcnt(1)
	v_mul_f64 v[128:129], v[90:91], s[38:39]
	v_fma_f64 v[82:83], v[110:111], v[34:35], s[30:31]
	v_fma_f64 v[137:138], v[122:123], v[30:31], s[40:41]
	v_add_co_u32 v30, vcc_lo, s24, v22
	v_add_co_ci_u32_e32 v31, vcc_lo, s25, v23, vcc_lo
	v_add_co_u32 v118, vcc_lo, s22, v20
	v_add_co_ci_u32_e32 v119, vcc_lo, s23, v21, vcc_lo
	v_sub_f32_e32 v34, v134, v142
	v_cmp_eq_u32_e32 vcc_lo, 1, v0
	global_load_b64 v[72:73], v[30:31], off
	v_fma_f64 v[78:79], v[120:121], v[78:79], 1.0
	global_store_b64 v[118:119], v[116:117], off
	v_fma_f64 v[116:117], v[102:103], s[28:29], v[80:81]
	v_cndmask_b32_e64 v34, -v142, v34, vcc_lo
	v_add_co_u32 v20, vcc_lo, s22, v18
	v_add_co_ci_u32_e32 v21, vcc_lo, s23, v19, vcc_lo
	v_cmp_nlt_f64_e32 vcc_lo, 0x40900000, v[24:25]
	v_rndne_f64_e32 v[18:19], v[84:85]
	v_fma_f64 v[84:85], v[108:109], v[130:131], s[10:11]
	v_fma_f64 v[24:25], v[114:115], v[135:136], s[18:19]
	v_rndne_f64_e32 v[30:31], v[128:129]
	v_add_nc_u32_e32 v118, 0x4ee0c, v1
	v_sub_f32_e32 v128, v134, v139
	v_ldexp_f64 v[14:15], v[68:69], v143
	v_cvt_i32_f64_e32 v143, v[112:113]
	v_sub_f32_e32 v135, v134, v140
	v_ashrrev_i32_e32 v119, 31, v118
	v_cvt_f64_f32_e32 v[34:35], v34
	v_cndmask_b32_e64 v95, 0x7ff00000, v95, s3
	v_fma_f64 v[82:83], v[110:111], v[82:83], s[34:35]
	v_fma_f64 v[126:127], v[122:123], v[137:138], 1.0
	s_delay_alu instid0(VALU_DEP_3)
	v_cndmask_b32_e64 v95, 0, v95, s4
	v_fma_f64 v[116:117], v[102:103], s[26:27], v[116:117]
	v_cndmask_b32_e32 v130, 0x7ff00000, v133, vcc_lo
	v_cndmask_b32_e64 v133, -v139, v128, s1
	v_cmp_nlt_f64_e64 s1, 0x40900000, v[16:17]
	v_lshlrev_b64 v[16:17], 3, v[118:119]
	v_fma_f64 v[84:85], v[108:109], v[84:85], s[12:13]
	v_ldexp_f64 v[118:119], v[98:99], v144
	v_rndne_f64_e32 v[98:99], v[124:125]
	v_mul_f64 v[124:125], v[66:67], s[38:39]
	v_fma_f64 v[24:25], v[114:115], v[24:25], s[30:31]
	v_add_co_u32 v68, s5, s24, v16
	s_delay_alu instid0(VALU_DEP_1) | instskip(SKIP_1) | instid1(VALU_DEP_1)
	v_add_co_ci_u32_e64 v69, s5, s25, v17, s5
	v_add_co_u32 v128, s5, s22, v12
	v_add_co_ci_u32_e64 v129, s5, s23, v13, s5
	v_fma_f64 v[12:13], v[120:121], v[78:79], 1.0
	v_fma_f64 v[78:79], v[18:19], s[28:29], v[86:87]
	global_load_b64 v[68:69], v[68:69], off
	v_fma_f64 v[82:83], v[110:111], v[82:83], s[36:37]
	v_cndmask_b32_e64 v121, 0, v130, s0
	v_cvt_i32_f64_e32 v139, v[56:57]
	v_fma_f64 v[130:131], v[30:31], s[28:29], v[90:91]
	s_and_b32 vcc_lo, s0, vcc_lo
	v_fma_f64 v[122:123], v[122:123], v[126:127], 1.0
	v_cndmask_b32_e32 v120, 0, v132, vcc_lo
	v_cmp_eq_u32_e32 vcc_lo, 3, v0
	v_cvt_f64_f32_e32 v[132:133], v133
	v_cmp_ngt_f64_e64 s0, 0xc090cc00, v[70:71]
	v_cmp_nlt_f64_e64 s5, 0x40900000, v[86:87]
	v_mul_f64 v[112:113], v[120:121], v[2:3]
	v_cndmask_b32_e64 v56, -v140, v135, vcc_lo
	v_add_co_u32 v126, vcc_lo, s22, v10
	v_add_co_ci_u32_e32 v127, vcc_lo, s23, v11, vcc_lo
	s_delay_alu instid0(VALU_DEP_3)
	v_cvt_f64_f32_e32 v[135:136], v56
	v_add_nc_u32_e32 v56, 0x51028, v1
	v_cndmask_b32_e64 v101, 0x7ff00000, v101, s1
	s_and_b32 vcc_lo, s2, s1
	v_cmp_nlt_f64_e64 s1, 0x40900000, v[60:61]
	v_cndmask_b32_e32 v100, 0, v100, vcc_lo
	s_and_b32 vcc_lo, s4, s3
	v_cndmask_b32_e64 v101, 0, v101, s2
	v_cmp_ngt_f64_e64 s2, 0xc090cc00, v[60:61]
	v_rndne_f64_e32 v[10:11], v[124:125]
	v_fma_f64 v[141:142], v[114:115], v[24:25], s[34:35]
	v_cndmask_b32_e32 v94, 0, v94, vcc_lo
	v_cmp_nlt_f64_e32 vcc_lo, 0x40900000, v[70:71]
	v_fma_f64 v[137:138], v[98:99], s[28:29], v[88:89]
	v_ashrrev_i32_e32 v57, 31, v56
	v_cmp_ngt_f64_e64 s4, 0xc090cc00, v[90:91]
	v_mul_f64 v[94:95], v[94:95], v[2:3]
	v_fma_f64 v[120:121], v[18:19], s[26:27], v[78:79]
	v_fma_f64 v[78:79], v[108:109], v[84:85], s[18:19]
	;; [unrolled: 1-line block ×4, first 2 shown]
	v_ldexp_f64 v[124:125], v[12:13], v139
	v_fma_f64 v[12:13], v[30:31], s[26:27], v[130:131]
	v_mul_f64 v[139:140], v[100:101], v[2:3]
	v_lshlrev_b64 v[56:57], 3, v[56:57]
	v_ldexp_f64 v[70:71], v[122:123], v143
	v_cvt_f32_f64_e32 v143, v[112:113]
	s_waitcnt vmcnt(2)
	v_mul_f64 v[112:113], v[76:77], s[38:39]
	s_delay_alu instid0(VALU_DEP_4) | instskip(NEXT) | instid1(VALU_DEP_1)
	v_add_co_u32 v24, s3, s24, v56
	v_add_co_ci_u32_e64 v25, s3, s25, v57, s3
	v_cmp_eq_u32_e64 s3, 20, v0
	global_load_b64 v[60:61], v[24:25], off
	s_clause 0x2
	global_store_b64 v[20:21], v[34:35], off
	global_store_b64 v[128:129], v[132:133], off
	global_store_b64 v[126:127], v[135:136], off
	v_cndmask_b32_e64 v119, 0x7ff00000, v119, s1
	v_add_nc_u32_e32 v20, 0x53244, v1
	s_and_b32 s1, s2, s1
	s_delay_alu instid0(VALU_DEP_2)
	v_cndmask_b32_e64 v35, 0, v119, s2
	v_cndmask_b32_e64 v34, 0, v118, s1
	v_fma_f64 v[122:123], v[10:11], s[28:29], v[66:67]
	v_fma_f64 v[130:131], v[114:115], v[141:142], s[36:37]
	v_cndmask_b32_e32 v15, 0x7ff00000, v15, vcc_lo
	v_ashrrev_i32_e32 v21, 31, v20
	v_fma_f64 v[100:101], v[98:99], s[26:27], v[137:138]
	s_and_b32 vcc_lo, s0, vcc_lo
	v_cmp_nlt_f64_e64 s1, 0x40900000, v[46:47]
	v_fma_f64 v[118:119], v[120:121], s[20:21], s[16:17]
	v_fma_f64 v[126:127], v[108:109], v[78:79], s[30:31]
	;; [unrolled: 1-line block ×3, first 2 shown]
	v_fma_f64 v[82:83], v[110:111], v[82:83], 1.0
	v_cndmask_b32_e64 v25, 0, v15, s0
	v_fma_f64 v[132:133], v[12:13], s[20:21], s[16:17]
	v_cndmask_b32_e32 v24, 0, v14, vcc_lo
	v_lshlrev_b64 v[14:15], 3, v[20:21]
	v_add_nc_u32_e32 v20, 0x55460, v1
	v_cmp_nlt_f64_e32 vcc_lo, 0x40900000, v[50:51]
	v_cmp_ngt_f64_e64 s0, 0xc090cc00, v[50:51]
	v_cvt_f32_f64_e32 v139, v[139:140]
	v_cvt_f32_f64_e32 v141, v[94:95]
	v_ashrrev_i32_e32 v21, 31, v20
	v_sub_f32_e32 v78, v134, v143
	v_rndne_f64_e32 v[112:113], v[112:113]
	v_add_co_u32 v50, s2, s24, v14
	s_delay_alu instid0(VALU_DEP_4)
	v_lshlrev_b64 v[20:21], 3, v[20:21]
	v_add_co_ci_u32_e64 v51, s2, s25, v15, s2
	v_cmp_ngt_f64_e64 s2, 0xc090cc00, v[46:47]
	v_cndmask_b32_e64 v78, -v143, v78, s3
	v_mul_f64 v[24:25], v[24:25], v[2:3]
	v_add_co_u32 v46, s3, s24, v20
	s_delay_alu instid0(VALU_DEP_1)
	v_add_co_ci_u32_e64 v47, s3, s25, v21, s3
	global_load_b64 v[84:85], v[50:51], off
	v_cvt_f64_f32_e32 v[50:51], v78
	v_cvt_i32_f64_e32 v143, v[104:105]
	global_load_b64 v[78:79], v[46:47], off
	v_cmp_eq_u32_e64 s3, 22, v0
	v_fma_f64 v[135:136], v[100:101], s[20:21], s[16:17]
	v_cndmask_b32_e64 v71, 0x7ff00000, v71, s1
	v_fma_f64 v[137:138], v[120:121], v[118:119], s[14:15]
	v_fma_f64 v[46:47], v[108:109], v[126:127], s[34:35]
	;; [unrolled: 1-line block ×4, first 2 shown]
	v_fma_f64 v[94:95], v[110:111], v[82:83], 1.0
	v_fma_f64 v[82:83], v[114:115], v[130:131], s[40:41]
	v_fma_f64 v[110:111], v[12:13], v[132:133], s[14:15]
	v_add_nc_u32_e32 v128, 0x5767c, v1
	v_mul_f64 v[130:131], v[34:35], v[2:3]
	v_cndmask_b32_e32 v125, 0x7ff00000, v125, vcc_lo
	s_and_b32 vcc_lo, s0, vcc_lo
	v_sub_f32_e32 v126, v134, v139
	v_cndmask_b32_e32 v124, 0, v124, vcc_lo
	v_add_co_u32 v8, vcc_lo, s22, v8
	v_add_co_ci_u32_e32 v9, vcc_lo, s23, v9, vcc_lo
	v_cmp_eq_u32_e32 vcc_lo, 21, v0
	v_ashrrev_i32_e32 v129, 31, v128
	v_cndmask_b32_e64 v125, 0, v125, s0
	v_cmp_ngt_f64_e64 s0, 0xc090cc00, v[48:49]
	v_cndmask_b32_e64 v71, 0, v71, s2
	v_cndmask_b32_e64 v132, -v139, v126, vcc_lo
	v_add_co_u32 v126, vcc_lo, s22, v6
	v_add_co_ci_u32_e32 v127, vcc_lo, s23, v7, vcc_lo
	v_fma_f64 v[6:7], v[112:113], s[28:29], v[76:77]
	v_lshlrev_b64 v[34:35], 3, v[128:129]
	v_cvt_i32_f64_e32 v139, v[96:97]
	v_cvt_f64_f32_e32 v[132:133], v132
	global_store_b64 v[8:9], v[50:51], off
	v_mul_f64 v[124:125], v[124:125], v[2:3]
	v_cvt_f32_f64_e32 v144, v[24:25]
	v_add_co_u32 v8, vcc_lo, s24, v34
	v_add_co_ci_u32_e32 v9, vcc_lo, s25, v35, vcc_lo
	v_fma_f64 v[96:97], v[120:121], v[137:138], s[10:11]
	v_fma_f64 v[46:47], v[108:109], v[46:47], s[36:37]
	;; [unrolled: 1-line block ×5, first 2 shown]
	v_fma_f64 v[82:83], v[114:115], v[82:83], 1.0
	v_fma_f64 v[110:111], v[12:13], v[110:111], s[10:11]
	global_load_b64 v[8:9], v[8:9], off
	v_cvt_f32_f64_e32 v142, v[130:131]
	v_add_nc_u32_e32 v130, 0x59898, v1
	s_and_b32 vcc_lo, s2, s1
	v_cvt_i32_f64_e32 v137, v[106:107]
	v_cndmask_b32_e32 v70, 0, v70, vcc_lo
	v_cmp_nlt_f64_e64 s1, 0x40900000, v[92:93]
	v_ashrrev_i32_e32 v131, 31, v130
	v_cmp_ngt_f64_e64 s2, 0xc090cc00, v[92:93]
	s_delay_alu instid0(VALU_DEP_4)
	v_mul_f64 v[70:71], v[70:71], v[2:3]
	v_fma_f64 v[6:7], v[112:113], s[26:27], v[6:7]
	global_store_b64 v[126:127], v[132:133], off
	v_cvt_f32_f64_e32 v145, v[124:125]
	v_sub_f32_e32 v126, v134, v144
	v_fma_f64 v[96:97], v[120:121], v[96:97], s[12:13]
	v_fma_f64 v[135:136], v[108:109], v[46:47], s[40:41]
	v_lshlrev_b64 v[46:47], 3, v[130:131]
	v_fma_f64 v[122:123], v[116:117], v[122:123], s[18:19]
	v_fma_f64 v[50:51], v[100:101], v[50:51], s[10:11]
	v_fma_f64 v[114:115], v[114:115], v[82:83], 1.0
	v_fma_f64 v[128:129], v[118:119], v[128:129], s[14:15]
	v_fma_f64 v[110:111], v[12:13], v[110:111], s[12:13]
	v_add_co_u32 v82, vcc_lo, s24, v46
	v_add_co_ci_u32_e32 v83, vcc_lo, s25, v47, vcc_lo
	v_ldexp_f64 v[130:131], v[94:95], v139
	v_cmp_nlt_f64_e32 vcc_lo, 0x40900000, v[48:49]
	v_sub_f32_e32 v48, v134, v141
	global_load_b64 v[82:83], v[82:83], off
	v_sub_f32_e32 v49, v134, v142
	v_cvt_f32_f64_e32 v146, v[70:71]
	v_fma_f64 v[94:95], v[6:7], s[20:21], s[16:17]
	v_fma_f64 v[96:97], v[120:121], v[96:97], s[18:19]
	;; [unrolled: 1-line block ×4, first 2 shown]
	v_ldexp_f64 v[114:115], v[114:115], v137
	v_fma_f64 v[106:107], v[118:119], v[128:129], s[10:11]
	v_fma_f64 v[128:129], v[108:109], v[135:136], 1.0
	v_fma_f64 v[110:111], v[12:13], v[110:111], s[18:19]
	v_cndmask_b32_e32 v131, 0x7ff00000, v131, vcc_lo
	s_and_b32 vcc_lo, s0, vcc_lo
	s_delay_alu instid0(VALU_DEP_1)
	v_cndmask_b32_e64 v127, 0, v131, s0
	v_cmp_ngt_f64_e64 s0, 0xc090cc00, v[74:75]
	v_fma_f64 v[94:95], v[6:7], v[94:95], s[14:15]
	v_fma_f64 v[96:97], v[120:121], v[96:97], s[30:31]
	;; [unrolled: 1-line block ×4, first 2 shown]
	v_cndmask_b32_e64 v115, 0x7ff00000, v115, s1
	v_fma_f64 v[106:107], v[118:119], v[106:107], s[12:13]
	v_fma_f64 v[108:109], v[108:109], v[128:129], 1.0
	s_waitcnt vmcnt(6)
	v_mul_f64 v[128:129], v[72:73], s[38:39]
	v_fma_f64 v[110:111], v[12:13], v[110:111], s[30:31]
	v_cndmask_b32_e64 v115, 0, v115, s2
	v_fma_f64 v[135:136], v[6:7], v[94:95], s[10:11]
	v_fma_f64 v[96:97], v[120:121], v[96:97], s[34:35]
	;; [unrolled: 1-line block ×5, first 2 shown]
	v_rndne_f64_e32 v[94:95], v[128:129]
	v_fma_f64 v[104:105], v[12:13], v[110:111], s[34:35]
	s_waitcnt vmcnt(5)
	v_mul_f64 v[110:111], v[68:69], s[38:39]
	v_fma_f64 v[128:129], v[6:7], v[135:136], s[12:13]
	v_fma_f64 v[24:25], v[120:121], v[96:97], s[36:37]
	;; [unrolled: 1-line block ×4, first 2 shown]
	v_cndmask_b32_e64 v50, -v141, v48, s3
	v_fma_f64 v[106:107], v[118:119], v[106:107], s[30:31]
	v_cmp_eq_u32_e64 s3, 23, v0
	v_fma_f64 v[137:138], v[94:95], s[28:29], v[72:73]
	v_fma_f64 v[139:140], v[12:13], v[104:105], s[36:37]
	v_ldexp_f64 v[104:105], v[108:109], v143
	v_cvt_f64_f32_e32 v[50:51], v50
	v_cndmask_b32_e64 v92, -v142, v49, s3
	v_add_co_u32 v48, s3, s22, v4
	s_delay_alu instid0(VALU_DEP_1) | instskip(SKIP_2) | instid1(VALU_DEP_1)
	v_add_co_ci_u32_e64 v49, s3, s23, v5, s3
	v_rndne_f64_e32 v[96:97], v[110:111]
	v_add_co_u32 v32, s3, s22, v32
	v_add_co_ci_u32_e64 v33, s3, s23, v33, s3
	v_cmp_eq_u32_e64 s3, 24, v0
	v_cvt_f64_f32_e32 v[92:93], v92
	v_fma_f64 v[108:109], v[6:7], v[128:129], s[18:19]
	s_delay_alu instid0(VALU_DEP_3)
	v_cndmask_b32_e64 v133, -v144, v126, s3
	v_cndmask_b32_e32 v126, 0, v130, vcc_lo
	s_and_b32 vcc_lo, s2, s1
	v_sub_f32_e32 v130, v134, v145
	v_cndmask_b32_e32 v114, 0, v114, vcc_lo
	v_cmp_nlt_f64_e32 vcc_lo, 0x40900000, v[74:75]
	v_cmp_eq_u32_e64 s1, 25, v0
	v_mul_f64 v[126:127], v[126:127], v[2:3]
	v_cmp_ngt_f64_e64 s2, 0xc090cc00, v[80:81]
	v_cmp_nlt_f64_e64 s3, 0x40900000, v[90:91]
	v_fma_f64 v[124:125], v[120:121], v[24:25], s[40:41]
	v_add_nc_u32_e32 v24, 0x5bab4, v1
	v_cndmask_b32_e64 v130, -v145, v130, s1
	v_fma_f64 v[122:123], v[116:117], v[122:123], 1.0
	v_fma_f64 v[110:111], v[100:101], v[135:136], s[36:37]
	s_waitcnt vmcnt(4)
	v_mul_f64 v[135:136], v[60:61], s[38:39]
	v_fma_f64 v[106:107], v[118:119], v[106:107], s[34:35]
	v_ashrrev_i32_e32 v25, 31, v24
	v_fma_f64 v[4:5], v[94:95], s[26:27], v[137:138]
	v_fma_f64 v[128:129], v[12:13], v[139:140], s[40:41]
	v_cvt_f64_f32_e32 v[137:138], v133
	v_mul_f64 v[139:140], v[114:115], v[2:3]
	v_lshlrev_b64 v[24:25], 3, v[24:25]
	v_fma_f64 v[131:132], v[96:97], s[28:29], v[68:69]
	s_delay_alu instid0(VALU_DEP_2) | instskip(NEXT) | instid1(VALU_DEP_1)
	v_add_co_u32 v70, s1, s24, v24
	v_add_co_ci_u32_e64 v71, s1, s25, v25, s1
	v_add_co_u32 v28, s1, s22, v28
	s_delay_alu instid0(VALU_DEP_1)
	v_add_co_ci_u32_e64 v29, s1, s23, v29, s1
	global_load_b64 v[70:71], v[70:71], off
	v_fma_f64 v[74:75], v[6:7], v[108:109], s[30:31]
	s_clause 0x1
	global_store_b64 v[48:49], v[50:51], off
	global_store_b64 v[32:33], v[92:93], off
	v_cvt_f64_f32_e32 v[48:49], v130
	v_add_co_u32 v92, s1, s22, v36
	v_cndmask_b32_e32 v105, 0x7ff00000, v105, vcc_lo
	s_and_b32 vcc_lo, s0, vcc_lo
	v_add_co_ci_u32_e64 v93, s1, s23, v37, s1
	v_sub_f32_e32 v32, v134, v146
	v_fma_f64 v[124:125], v[120:121], v[124:125], 1.0
	v_cmp_eq_u32_e64 s1, 26, v0
	v_cvt_f32_f64_e32 v114, v[126:127]
	v_fma_f64 v[115:116], v[116:117], v[122:123], 1.0
	v_cvt_i32_f64_e32 v117, v[102:103]
	v_fma_f64 v[141:142], v[100:101], v[110:111], s[40:41]
	s_waitcnt vmcnt(4)
	v_mul_f64 v[143:144], v[84:85], s[38:39]
	v_rndne_f64_e32 v[102:103], v[135:136]
	v_fma_f64 v[122:123], v[4:5], s[20:21], s[16:17]
	v_fma_f64 v[128:129], v[12:13], v[128:129], 1.0
	v_fma_f64 v[106:107], v[118:119], v[106:107], s[36:37]
	global_store_b64 v[28:29], v[137:138], off
	v_cndmask_b32_e64 v29, 0, v105, s0
	v_cndmask_b32_e32 v28, 0, v104, vcc_lo
	v_cndmask_b32_e64 v110, -v146, v32, s1
	v_add_co_u32 v38, vcc_lo, s22, v38
	v_fma_f64 v[108:109], v[96:97], s[26:27], v[131:132]
	s_waitcnt vmcnt(3)
	v_mul_f64 v[130:131], v[78:79], s[38:39]
	v_mul_f64 v[104:105], v[28:29], v[2:3]
	v_add_nc_u32_e32 v28, 0x5dcd0, v1
	v_cvt_f32_f64_e32 v111, v[139:140]
	v_add_co_ci_u32_e32 v39, vcc_lo, s23, v39, vcc_lo
	v_cvt_i32_f64_e32 v139, v[18:19]
	s_delay_alu instid0(VALU_DEP_4) | instskip(SKIP_4) | instid1(VALU_DEP_2)
	v_ashrrev_i32_e32 v29, 31, v28
	v_cmp_nlt_f64_e64 s1, 0x40900000, v[80:81]
	v_fma_f64 v[50:51], v[6:7], v[74:75], s[34:35]
	v_add_nc_u32_e32 v74, 0x62108, v1
	v_cmp_ngt_f64_e64 s0, 0xc090cc00, v[88:89]
	v_ashrrev_i32_e32 v75, 31, v74
	v_fma_f64 v[36:37], v[120:121], v[124:125], 1.0
	v_sub_f32_e32 v137, v134, v114
	v_ldexp_f64 v[124:125], v[115:116], v117
	v_cvt_i32_f64_e32 v115, v[30:31]
	v_add_nc_u32_e32 v30, 0x5feec, v1
	v_fma_f64 v[32:33], v[100:101], v[141:142], 1.0
	v_fma_f64 v[120:121], v[4:5], v[122:123], s[14:15]
	v_rndne_f64_e32 v[116:117], v[143:144]
	v_fma_f64 v[122:123], v[12:13], v[128:129], 1.0
	v_ashrrev_i32_e32 v31, 31, v30
	v_lshlrev_b64 v[12:13], 3, v[28:29]
	v_fma_f64 v[128:129], v[102:103], s[28:29], v[60:61]
	v_fma_f64 v[106:107], v[118:119], v[106:107], s[40:41]
	v_cvt_i32_f64_e32 v141, v[98:99]
	v_lshlrev_b64 v[28:29], 3, v[30:31]
	v_lshlrev_b64 v[30:31], 3, v[74:75]
	v_rndne_f64_e32 v[18:19], v[130:131]
	v_add_co_u32 v130, vcc_lo, s24, v12
	v_add_co_ci_u32_e32 v131, vcc_lo, s25, v13, vcc_lo
	v_add_co_u32 v74, vcc_lo, s24, v28
	v_add_co_ci_u32_e32 v75, vcc_lo, s25, v29, vcc_lo
	v_fma_f64 v[126:127], v[108:109], s[20:21], s[16:17]
	v_fma_f64 v[132:133], v[6:7], v[50:51], s[36:37]
	s_clause 0x1
	global_load_b64 v[50:51], v[130:131], off
	global_load_b64 v[74:75], v[74:75], off
	s_waitcnt vmcnt(4)
	v_mul_f64 v[135:136], v[8:9], s[38:39]
	v_add_co_u32 v130, vcc_lo, s24, v30
	v_add_co_ci_u32_e32 v131, vcc_lo, s25, v31, vcc_lo
	v_add_co_u32 v98, vcc_lo, s22, v26
	v_add_co_ci_u32_e32 v99, vcc_lo, s23, v27, vcc_lo
	v_cmp_eq_u32_e32 vcc_lo, 27, v0
	v_cndmask_b32_e64 v144, 0x7ff00000, v125, s1
	s_and_b32 s1, s2, s1
	v_fma_f64 v[100:101], v[100:101], v[32:33], 1.0
	global_load_b64 v[32:33], v[130:131], off
	v_fma_f64 v[26:27], v[116:117], s[28:29], v[84:85]
	v_cndmask_b32_e64 v142, -v114, v137, vcc_lo
	v_sub_f32_e32 v114, v134, v111
	v_cmp_eq_u32_e32 vcc_lo, 28, v0
	v_ldexp_f64 v[137:138], v[122:123], v115
	v_fma_f64 v[130:131], v[4:5], v[120:121], s[10:11]
	v_fma_f64 v[120:121], v[102:103], s[26:27], v[128:129]
	v_fma_f64 v[106:107], v[118:119], v[106:107], 1.0
	v_cndmask_b32_e64 v143, -v111, v114, vcc_lo
	v_fma_f64 v[114:115], v[18:19], s[28:29], v[78:79]
	v_cvt_f64_f32_e32 v[110:111], v110
	v_cmp_nlt_f64_e32 vcc_lo, 0x40900000, v[88:89]
	v_fma_f64 v[126:127], v[108:109], v[126:127], s[14:15]
	v_fma_f64 v[128:129], v[6:7], v[132:133], s[40:41]
	v_ldexp_f64 v[132:133], v[36:37], v139
	s_waitcnt vmcnt(4)
	v_mul_f64 v[139:140], v[82:83], s[38:39]
	v_rndne_f64_e32 v[36:37], v[135:136]
	v_cvt_f32_f64_e32 v135, v[104:105]
	v_cvt_i32_f64_e32 v136, v[10:11]
	v_ldexp_f64 v[80:81], v[100:101], v141
	v_cvt_f64_f32_e32 v[100:101], v142
	v_fma_f64 v[122:123], v[116:117], s[26:27], v[26:27]
	s_clause 0x2
	global_store_b64 v[92:93], v[48:49], off
	global_store_b64 v[38:39], v[110:111], off
	;; [unrolled: 1-line block ×3, first 2 shown]
	v_fma_f64 v[26:27], v[18:19], s[26:27], v[114:115]
	v_fma_f64 v[125:126], v[108:109], v[126:127], s[10:11]
	v_fma_f64 v[127:128], v[6:7], v[128:129], 1.0
	v_fma_f64 v[106:107], v[118:119], v[106:107], 1.0
	v_rndne_f64_e32 v[104:105], v[139:140]
	v_fma_f64 v[86:87], v[36:37], s[28:29], v[8:9]
	v_cvt_f64_f32_e32 v[114:115], v143
	v_fma_f64 v[118:119], v[4:5], v[130:131], s[12:13]
	v_fma_f64 v[130:131], v[120:121], s[20:21], s[16:17]
	;; [unrolled: 1-line block ×3, first 2 shown]
	v_add_co_u32 v38, s7, s22, v58
	s_delay_alu instid0(VALU_DEP_1)
	v_add_co_ci_u32_e64 v39, s7, s23, v59, s7
	v_sub_f32_e32 v10, v134, v135
	v_cmp_eq_u32_e64 s7, 29, v0
	v_cndmask_b32_e32 v81, 0x7ff00000, v81, vcc_lo
	s_and_b32 vcc_lo, s0, vcc_lo
	v_cndmask_b32_e64 v98, 0, v124, s1
	s_and_b32 s1, s4, s3
	v_cndmask_b32_e64 v88, -v135, v10, s7
	v_add_co_u32 v10, s7, s22, v62
	s_delay_alu instid0(VALU_DEP_1) | instskip(NEXT) | instid1(VALU_DEP_3)
	v_add_co_ci_u32_e64 v11, s7, s23, v63, s7
	v_cvt_f64_f32_e32 v[90:91], v88
	v_add_nc_u32_e32 v88, 0x6875c, v1
	v_cndmask_b32_e64 v100, 0, v137, s1
	s_and_b32 s1, s6, s5
	v_cndmask_b32_e64 v138, 0x7ff00000, v138, s3
	v_cndmask_b32_e64 v129, 0x7ff00000, v133, s5
	v_ashrrev_i32_e32 v89, 31, v88
	v_cndmask_b32_e64 v99, 0, v144, s2
	v_cvt_i32_f64_e32 v142, v[94:95]
	v_cndmask_b32_e64 v101, 0, v138, s4
	v_cndmask_b32_e64 v129, 0, v129, s6
	v_cmp_ngt_f64_e64 s2, 0xc090cc00, v[68:69]
	v_mul_f64 v[98:99], v[98:99], v[2:3]
	v_fma_f64 v[58:59], v[26:27], s[20:21], s[16:17]
	v_mul_f64 v[100:101], v[100:101], v[2:3]
	v_fma_f64 v[110:111], v[6:7], v[127:128], 1.0
	v_add_nc_u32_e32 v6, 0x66540, v1
	v_ldexp_f64 v[92:93], v[106:107], v136
	v_fma_f64 v[62:63], v[104:105], s[28:29], v[82:83]
	v_fma_f64 v[106:107], v[36:37], s[26:27], v[86:87]
	global_store_b64 v[38:39], v[114:115], off
	v_ashrrev_i32_e32 v7, 31, v6
	v_fma_f64 v[114:115], v[4:5], v[118:119], s[18:19]
	v_fma_f64 v[118:119], v[108:109], v[125:126], s[12:13]
	v_cndmask_b32_e32 v126, 0, v80, vcc_lo
	v_cndmask_b32_e64 v127, 0, v81, s0
	v_lshlrev_b64 v[38:39], 3, v[6:7]
	v_add_nc_u32_e32 v6, 0x6a978, v1
	v_fma_f64 v[124:125], v[120:121], v[130:131], s[14:15]
	v_add_nc_u32_e32 v86, 0x64324, v1
	v_cndmask_b32_e64 v128, 0, v132, s1
	v_fma_f64 v[131:132], v[122:123], v[48:49], s[14:15]
	v_add_co_u32 v80, vcc_lo, s24, v38
	v_add_co_ci_u32_e32 v81, vcc_lo, s25, v39, vcc_lo
	v_lshlrev_b64 v[48:49], 3, v[88:89]
	v_ashrrev_i32_e32 v7, 31, v6
	v_ashrrev_i32_e32 v87, 31, v86
	global_load_b64 v[88:89], v[80:81], off
	v_cvt_i32_f64_e32 v130, v[112:113]
	v_cmp_ngt_f64_e64 s0, 0xc090cc00, v[66:67]
	v_lshlrev_b64 v[6:7], 3, v[6:7]
	v_add_co_u32 v80, vcc_lo, s24, v48
	v_add_co_ci_u32_e32 v81, vcc_lo, s25, v49, vcc_lo
	v_cmp_eq_u32_e64 s1, 30, v0
	v_mul_f64 v[128:129], v[128:129], v[2:3]
	v_mul_f64 v[126:127], v[126:127], v[2:3]
	v_cmp_ngt_f64_e64 s4, 0xc090cc00, v[60:61]
	v_fma_f64 v[135:136], v[26:27], v[58:59], s[14:15]
	v_lshlrev_b64 v[58:59], 3, v[86:87]
	v_add_co_u32 v86, vcc_lo, s24, v6
	v_add_co_ci_u32_e32 v87, vcc_lo, s25, v7, vcc_lo
	v_fma_f64 v[112:113], v[104:105], s[26:27], v[62:63]
	s_delay_alu instid0(VALU_DEP_4)
	v_add_co_u32 v137, vcc_lo, s24, v58
	v_fma_f64 v[139:140], v[106:107], s[20:21], s[16:17]
	v_add_co_ci_u32_e32 v138, vcc_lo, s25, v59, vcc_lo
	s_clause 0x2
	global_load_b64 v[80:81], v[80:81], off
	global_load_b64 v[62:63], v[86:87], off
	;; [unrolled: 1-line block ×3, first 2 shown]
	v_fma_f64 v[114:115], v[4:5], v[114:115], s[30:31]
	v_fma_f64 v[118:119], v[108:109], v[118:119], s[18:19]
	;; [unrolled: 1-line block ×3, first 2 shown]
	v_cmp_nlt_f64_e32 vcc_lo, 0x40900000, v[66:67]
	v_fma_f64 v[132:133], v[122:123], v[131:132], s[10:11]
	v_cvt_f32_f64_e32 v137, v[98:99]
	v_cvt_f32_f64_e32 v138, v[100:101]
	v_cmp_ngt_f64_e64 s6, 0xc090cc00, v[84:85]
	v_ldexp_f64 v[130:131], v[110:111], v130
	v_cvt_f32_f64_e32 v141, v[126:127]
	v_fma_f64 v[110:111], v[26:27], v[135:136], s[10:11]
	v_fma_f64 v[66:67], v[112:113], s[20:21], s[16:17]
	;; [unrolled: 1-line block ×6, first 2 shown]
	v_cndmask_b32_e32 v93, 0x7ff00000, v93, vcc_lo
	v_fma_f64 v[132:133], v[122:123], v[132:133], s[12:13]
	s_and_b32 vcc_lo, s0, vcc_lo
	v_cndmask_b32_e32 v92, 0, v92, vcc_lo
	v_cmp_nlt_f64_e32 vcc_lo, 0x40900000, v[76:77]
	v_cndmask_b32_e64 v93, 0, v93, s0
	v_cmp_ngt_f64_e64 s0, 0xc090cc00, v[76:77]
	v_sub_f32_e32 v76, v134, v137
	v_fma_f64 v[110:111], v[26:27], v[110:111], s[12:13]
	v_fma_f64 v[66:67], v[112:113], v[66:67], s[14:15]
	;; [unrolled: 1-line block ×7, first 2 shown]
	s_waitcnt vmcnt(7)
	v_mul_f64 v[132:133], v[70:71], s[38:39]
	v_cndmask_b32_e32 v143, 0x7ff00000, v131, vcc_lo
	s_and_b32 vcc_lo, s0, vcc_lo
	v_fma_f64 v[110:111], v[26:27], v[110:111], s[18:19]
	v_fma_f64 v[66:67], v[112:113], v[66:67], s[10:11]
	;; [unrolled: 1-line block ×6, first 2 shown]
	v_cndmask_b32_e64 v124, -v137, v76, s1
	v_fma_f64 v[76:77], v[122:123], v[98:99], s[30:31]
	v_add_co_u32 v98, s1, s22, v44
	s_delay_alu instid0(VALU_DEP_1) | instskip(NEXT) | instid1(VALU_DEP_4)
	v_add_co_ci_u32_e64 v99, s1, s23, v45, s1
	v_cvt_f64_f32_e32 v[124:125], v124
	v_rndne_f64_e32 v[44:45], v[132:133]
	v_sub_f32_e32 v133, v134, v138
	v_cmp_eq_u32_e64 s1, 31, v0
	s_delay_alu instid0(VALU_DEP_1) | instskip(SKIP_1) | instid1(VALU_DEP_1)
	v_cndmask_b32_e64 v133, -v138, v133, s1
	v_add_co_u32 v64, s1, s22, v64
	v_add_co_ci_u32_e64 v65, s1, s23, v65, s1
	v_fma_f64 v[110:111], v[26:27], v[110:111], s[30:31]
	v_fma_f64 v[66:67], v[112:113], v[66:67], s[12:13]
	v_fma_f64 v[131:132], v[106:107], v[135:136], s[18:19]
	v_cvt_f64_f32_e32 v[135:136], v133
	global_store_b64 v[10:11], v[90:91], off
	s_waitcnt vmcnt(6)
	v_mul_f64 v[10:11], v[50:51], s[38:39]
	s_waitcnt vmcnt(5)
	v_mul_f64 v[90:91], v[74:75], s[38:39]
	v_fma_f64 v[114:115], v[4:5], v[114:115], 1.0
	v_fma_f64 v[100:101], v[108:109], v[100:101], s[40:41]
	v_fma_f64 v[118:119], v[120:121], v[118:119], s[34:35]
	v_cvt_f32_f64_e32 v133, v[128:129]
	v_fma_f64 v[76:77], v[122:123], v[76:77], s[34:35]
	global_store_b64 v[98:99], v[124:125], off
	v_fma_f64 v[98:99], v[44:45], s[28:29], v[70:71]
	s_waitcnt vmcnt(4)
	v_mul_f64 v[124:125], v[32:33], s[38:39]
	v_fma_f64 v[110:111], v[26:27], v[110:111], s[34:35]
	v_fma_f64 v[137:138], v[112:113], v[66:67], s[18:19]
	v_add_nc_u32_e32 v66, 0x6cb94, v1
	v_fma_f64 v[131:132], v[106:107], v[131:132], s[30:31]
	global_store_b64 v[64:65], v[135:136], off
	v_ashrrev_i32_e32 v67, 31, v66
	v_fma_f64 v[4:5], v[4:5], v[114:115], 1.0
	v_mul_f64 v[114:115], v[92:93], v[2:3]
	v_rndne_f64_e32 v[92:93], v[10:11]
	v_fma_f64 v[139:140], v[120:121], v[118:119], s[36:37]
	v_lshlrev_b64 v[10:11], 3, v[66:67]
	v_fma_f64 v[128:129], v[108:109], v[100:101], 1.0
	v_rndne_f64_e32 v[100:101], v[90:91]
	v_fma_f64 v[76:77], v[122:123], v[76:77], s[36:37]
	v_sub_f32_e32 v94, v134, v133
	v_add_co_u32 v66, s1, s24, v10
	s_delay_alu instid0(VALU_DEP_1)
	v_add_co_ci_u32_e64 v67, s1, s25, v11, s1
	v_fma_f64 v[118:119], v[44:45], s[26:27], v[98:99]
	v_rndne_f64_e32 v[98:99], v[124:125]
	v_cmp_eq_u32_e64 s1, 32, v0
	global_load_b64 v[66:67], v[66:67], off
	v_fma_f64 v[90:91], v[26:27], v[110:111], s[36:37]
	v_fma_f64 v[110:111], v[112:113], v[137:138], s[30:31]
	;; [unrolled: 1-line block ×3, first 2 shown]
	v_cndmask_b32_e64 v131, -v133, v94, s1
	v_add_co_u32 v126, s1, s22, v54
	s_delay_alu instid0(VALU_DEP_1)
	v_add_co_ci_u32_e64 v127, s1, s23, v55, s1
	v_cvt_f32_f64_e32 v144, v[114:115]
	v_fma_f64 v[94:95], v[92:93], s[28:29], v[50:51]
	v_fma_f64 v[114:115], v[120:121], v[139:140], s[40:41]
	v_add_co_u32 v54, s1, s22, v52
	v_fma_f64 v[108:109], v[108:109], v[128:129], 1.0
	v_fma_f64 v[64:65], v[122:123], v[76:77], s[40:41]
	v_fma_f64 v[76:77], v[100:101], s[28:29], v[74:75]
	v_add_co_ci_u32_e64 v55, s1, s23, v53, s1
	v_cvt_f64_f32_e32 v[131:132], v131
	v_cvt_i32_f64_e32 v133, v[96:97]
	v_sub_f32_e32 v96, v134, v141
	v_fma_f64 v[128:129], v[118:119], s[20:21], s[16:17]
	v_fma_f64 v[52:53], v[98:99], s[28:29], v[32:33]
	v_cmp_eq_u32_e64 s1, 33, v0
	v_ldexp_f64 v[4:5], v[4:5], v142
	s_delay_alu instid0(VALU_DEP_2)
	v_cndmask_b32_e64 v139, -v141, v96, s1
	v_cmp_eq_u32_e64 s1, 34, v0
	v_fma_f64 v[90:91], v[26:27], v[90:91], s[40:41]
	v_fma_f64 v[135:136], v[112:113], v[110:111], s[34:35]
	;; [unrolled: 1-line block ×4, first 2 shown]
	v_fma_f64 v[94:95], v[120:121], v[114:115], 1.0
	v_fma_f64 v[137:138], v[122:123], v[64:65], 1.0
	v_fma_f64 v[114:115], v[100:101], s[26:27], v[76:77]
	v_cvt_f64_f32_e32 v[64:65], v139
	global_store_b64 v[126:127], v[131:132], off
	v_ldexp_f64 v[76:77], v[108:109], v133
	v_cndmask_b32_e64 v109, 0, v143, s0
	v_fma_f64 v[128:129], v[118:119], v[128:129], s[14:15]
	v_fma_f64 v[96:97], v[98:99], s[26:27], v[52:53]
	v_cndmask_b32_e32 v108, 0, v130, vcc_lo
	v_cmp_nlt_f64_e32 vcc_lo, 0x40900000, v[72:73]
	v_cmp_ngt_f64_e64 s0, 0xc090cc00, v[72:73]
	v_sub_f32_e32 v52, v134, v144
	v_fma_f64 v[90:91], v[26:27], v[90:91], 1.0
	s_delay_alu instid0(VALU_DEP_2) | instskip(SKIP_3) | instid1(VALU_DEP_3)
	v_cndmask_b32_e64 v52, -v144, v52, s1
	s_waitcnt vmcnt(4)
	v_mul_f64 v[139:140], v[88:89], s[38:39]
	v_fma_f64 v[131:132], v[112:113], v[135:136], s[36:37]
	v_cvt_f64_f32_e32 v[52:53], v52
	v_fma_f64 v[135:136], v[106:107], v[124:125], s[40:41]
	v_fma_f64 v[141:142], v[110:111], s[20:21], s[16:17]
	v_fma_f64 v[120:121], v[120:121], v[94:95], 1.0
	v_fma_f64 v[122:123], v[122:123], v[137:138], 1.0
	v_fma_f64 v[124:125], v[114:115], s[20:21], s[16:17]
	v_cvt_i32_f64_e32 v137, v[18:19]
	global_store_b64 v[54:55], v[64:65], off
	v_add_nc_u32_e32 v64, 0x6edb0, v1
	v_cvt_i32_f64_e32 v138, v[104:105]
	v_mul_f64 v[104:105], v[108:109], v[2:3]
	v_fma_f64 v[126:127], v[118:119], v[128:129], s[10:11]
	s_waitcnt vmcnt(1)
	v_mul_f64 v[94:95], v[86:87], s[38:39]
	v_cvt_i32_f64_e32 v128, v[102:103]
	v_cvt_i32_f64_e32 v129, v[116:117]
	v_fma_f64 v[102:103], v[96:97], s[20:21], s[16:17]
	v_add_co_u32 v116, s1, s22, v42
	s_delay_alu instid0(VALU_DEP_1)
	v_add_co_ci_u32_e64 v117, s1, s23, v43, s1
	v_ashrrev_i32_e32 v65, 31, v64
	v_fma_f64 v[72:73], v[26:27], v[90:91], 1.0
	v_add_nc_u32_e32 v26, 0x70fcc, v1
	v_cmp_nlt_f64_e64 s1, 0x40900000, v[68:69]
	v_cndmask_b32_e32 v5, 0x7ff00000, v5, vcc_lo
	v_rndne_f64_e32 v[90:91], v[139:140]
	s_and_b32 vcc_lo, s0, vcc_lo
	v_fma_f64 v[130:131], v[112:113], v[131:132], s[40:41]
	v_ashrrev_i32_e32 v27, 31, v26
	v_cndmask_b32_e64 v109, 0, v5, s0
	v_fma_f64 v[132:133], v[106:107], v[135:136], 1.0
	v_cndmask_b32_e32 v108, 0, v4, vcc_lo
	v_cmp_nlt_f64_e32 vcc_lo, 0x40900000, v[78:79]
	v_lshlrev_b64 v[18:19], 3, v[26:27]
	v_add_nc_u32_e32 v26, 0x731e8, v1
	v_cmp_ngt_f64_e64 s0, 0xc090cc00, v[78:79]
	v_mul_f64 v[108:109], v[108:109], v[2:3]
	v_fma_f64 v[135:136], v[110:111], v[141:142], s[14:15]
	v_cvt_i32_f64_e32 v140, v[44:45]
	v_add_co_u32 v42, s3, s24, v18
	s_delay_alu instid0(VALU_DEP_1)
	v_add_co_ci_u32_e64 v43, s3, s25, v19, s3
	v_ashrrev_i32_e32 v27, 31, v26
	v_fma_f64 v[124:125], v[114:115], v[124:125], s[14:15]
	global_load_b64 v[54:55], v[42:43], off
	v_lshlrev_b64 v[42:43], 3, v[64:65]
	v_lshlrev_b64 v[26:27], 3, v[26:27]
	v_fma_f64 v[126:127], v[118:119], v[126:127], s[12:13]
	v_rndne_f64_e32 v[94:95], v[94:95]
	v_ldexp_f64 v[120:121], v[120:121], v128
	v_ldexp_f64 v[122:123], v[122:123], v129
	v_fma_f64 v[102:103], v[96:97], v[102:103], s[14:15]
	v_add_co_u32 v64, s3, s24, v26
	s_delay_alu instid0(VALU_DEP_1) | instskip(SKIP_1) | instid1(VALU_DEP_1)
	v_add_co_ci_u32_e64 v65, s3, s25, v27, s3
	v_add_co_u32 v68, s3, s24, v42
	v_add_co_ci_u32_e64 v69, s3, s25, v43, s3
	s_clause 0x1
	global_load_b64 v[64:65], v[64:65], off
	global_load_b64 v[68:69], v[68:69], off
	v_fma_f64 v[130:131], v[112:113], v[130:131], 1.0
	v_cmp_nlt_f64_e64 s3, 0x40900000, v[60:61]
	v_add_co_u32 v60, s5, s22, v40
	v_fma_f64 v[128:129], v[106:107], v[132:133], 1.0
	v_fma_f64 v[106:107], v[90:91], s[28:29], v[88:89]
	v_add_co_ci_u32_e64 v61, s5, s23, v41, s5
	v_ldexp_f64 v[72:73], v[72:73], v137
	v_cvt_i32_f64_e32 v137, v[36:37]
	v_fma_f64 v[36:37], v[110:111], v[135:136], s[10:11]
	v_cmp_nlt_f64_e64 s5, 0x40900000, v[84:85]
	v_mul_f64 v[40:41], v[80:81], s[38:39]
	v_add_nc_u32_e32 v84, 0x75404, v1
	v_cndmask_b32_e64 v77, 0x7ff00000, v77, s1
	s_and_b32 s1, s2, s1
	v_fma_f64 v[124:125], v[114:115], v[124:125], s[10:11]
	s_delay_alu instid0(VALU_DEP_3) | instskip(SKIP_2) | instid1(VALU_DEP_3)
	v_ashrrev_i32_e32 v85, 31, v84
	v_fma_f64 v[126:127], v[118:119], v[126:127], s[18:19]
	v_fma_f64 v[132:133], v[94:95], s[28:29], v[86:87]
	v_lshlrev_b64 v[4:5], 3, v[84:85]
	v_fma_f64 v[135:136], v[96:97], v[102:103], s[10:11]
	v_fma_f64 v[112:113], v[112:113], v[130:131], 1.0
	v_cndmask_b32_e64 v130, 0, v76, s1
	s_delay_alu instid0(VALU_DEP_4)
	v_add_co_u32 v76, s1, s24, v4
	v_cndmask_b32_e64 v131, 0, v77, s2
	v_fma_f64 v[102:103], v[90:91], s[26:27], v[106:107]
	v_add_co_ci_u32_e64 v77, s1, s25, v5, s1
	s_and_b32 s1, s4, s3
	v_cndmask_b32_e64 v121, 0x7ff00000, v121, s3
	v_fma_f64 v[36:37], v[110:111], v[36:37], s[12:13]
	v_cndmask_b32_e64 v139, 0x7ff00000, v123, s5
	global_load_b64 v[76:77], v[76:77], off
	v_rndne_f64_e32 v[40:41], v[40:41]
	v_cndmask_b32_e64 v120, 0, v120, s1
	s_and_b32 s1, s6, s5
	v_cndmask_b32_e64 v121, 0, v121, s4
	v_fma_f64 v[123:124], v[114:115], v[124:125], s[12:13]
	v_cmp_ngt_f64_e64 s2, 0xc090cc00, v[8:9]
	v_cmp_nlt_f64_e64 s3, 0x40900000, v[82:83]
	v_cmp_ngt_f64_e64 s4, 0xc090cc00, v[82:83]
	v_cmp_eq_u32_e64 s5, 35, v0
	v_fma_f64 v[125:126], v[118:119], v[126:127], s[30:31]
	v_fma_f64 v[106:107], v[94:95], s[26:27], v[132:133]
	v_ldexp_f64 v[127:128], v[128:129], v137
	v_mul_f64 v[130:131], v[130:131], v[2:3]
	v_fma_f64 v[78:79], v[96:97], v[135:136], s[12:13]
	v_cndmask_b32_e64 v135, 0, v122, s1
	v_cmp_nlt_f64_e64 s1, 0x40900000, v[8:9]
	v_cndmask_b32_e64 v136, 0, v139, s6
	v_mul_f64 v[120:121], v[120:121], v[2:3]
	v_cndmask_b32_e32 v73, 0x7ff00000, v73, vcc_lo
	s_and_b32 vcc_lo, s0, vcc_lo
	s_delay_alu instid0(VALU_DEP_3)
	v_mul_f64 v[135:136], v[135:136], v[2:3]
	v_ldexp_f64 v[132:133], v[112:113], v138
	v_mul_f64 v[112:113], v[62:63], s[38:39]
	v_fma_f64 v[84:85], v[102:103], s[20:21], s[16:17]
	v_fma_f64 v[36:37], v[110:111], v[36:37], s[18:19]
	;; [unrolled: 1-line block ×6, first 2 shown]
	v_cvt_f32_f64_e32 v126, v[104:105]
	v_cvt_f32_f64_e32 v130, v[130:131]
	v_fma_f64 v[78:79], v[96:97], v[78:79], s[18:19]
	v_cndmask_b32_e64 v139, 0x7ff00000, v128, s1
	v_cndmask_b32_e64 v133, 0x7ff00000, v133, s3
	v_fma_f64 v[104:105], v[102:103], v[84:85], s[14:15]
	v_rndne_f64_e32 v[84:85], v[112:113]
	v_fma_f64 v[36:37], v[110:111], v[36:37], s[30:31]
	v_fma_f64 v[122:123], v[114:115], v[122:123], s[30:31]
	;; [unrolled: 1-line block ×4, first 2 shown]
	v_sub_f32_e32 v112, v134, v126
	v_cvt_f32_f64_e32 v137, v[120:121]
	v_fma_f64 v[78:79], v[96:97], v[78:79], s[30:31]
	v_sub_f32_e32 v131, v134, v130
	v_cvt_f32_f64_e32 v138, v[135:136]
	v_cndmask_b32_e64 v112, -v126, v112, s5
	v_cvt_f32_f64_e32 v126, v[108:109]
	s_delay_alu instid0(VALU_DEP_2)
	v_cvt_f64_f32_e32 v[128:129], v112
	global_store_b64 v[116:117], v[52:53], off
	v_fma_f64 v[112:113], v[40:41], s[26:27], v[8:9]
	s_waitcnt vmcnt(4)
	v_mul_f64 v[52:53], v[66:67], s[38:39]
	v_fma_f64 v[104:105], v[102:103], v[104:105], s[10:11]
	v_fma_f64 v[116:117], v[84:85], s[28:29], v[62:63]
	;; [unrolled: 1-line block ×7, first 2 shown]
	global_store_b64 v[60:61], v[128:129], off
	v_add_co_u32 v60, s5, s22, v22
	s_delay_alu instid0(VALU_DEP_1) | instskip(SKIP_1) | instid1(VALU_DEP_1)
	v_add_co_ci_u32_e64 v61, s5, s23, v23, s5
	v_add_co_u32 v16, s5, s22, v16
	v_add_co_ci_u32_e64 v17, s5, s23, v17, s5
	v_fma_f64 v[124:125], v[102:103], v[104:105], s[12:13]
	v_rndne_f64_e32 v[104:105], v[52:53]
	v_fma_f64 v[108:109], v[84:85], s[26:27], v[116:117]
	v_fma_f64 v[52:53], v[112:113], s[20:21], s[16:17]
	v_add_co_u32 v22, s5, s22, v56
	v_fma_f64 v[36:37], v[110:111], v[36:37], s[36:37]
	v_add_co_ci_u32_e64 v23, s5, s23, v57, s5
	v_cndmask_b32_e64 v57, 0, v139, s2
	v_sub_f32_e32 v139, v134, v137
	v_fma_f64 v[116:117], v[106:107], v[8:9], s[12:13]
	v_cndmask_b32_e64 v9, 0, v73, s0
	v_cndmask_b32_e32 v8, 0, v72, vcc_lo
	v_fma_f64 v[72:73], v[96:97], v[78:79], s[36:37]
	v_fma_f64 v[122:123], v[118:119], v[122:123], 1.0
	s_and_b32 vcc_lo, s2, s1
	v_fma_f64 v[82:83], v[114:115], v[82:83], s[36:37]
	v_cndmask_b32_e32 v56, 0, v127, vcc_lo
	s_and_b32 vcc_lo, s4, s3
	v_cndmask_b32_e64 v79, 0, v133, s4
	v_cndmask_b32_e32 v78, 0, v132, vcc_lo
	v_cmp_eq_u32_e32 vcc_lo, 36, v0
	v_cmp_ngt_f64_e64 s0, 0xc090cc00, v[70:71]
	v_add_co_u32 v20, s1, s22, v20
	s_delay_alu instid0(VALU_DEP_1)
	v_add_co_ci_u32_e64 v21, s1, s23, v21, s1
	v_cmp_eq_u32_e64 s1, 42, v0
	v_cmp_ngt_f64_e64 s2, 0xc090cc00, v[32:33]
	v_cmp_ngt_f64_e64 s4, 0xc090cc00, v[50:51]
	v_fma_f64 v[120:121], v[102:103], v[124:125], s[18:19]
	v_sub_f32_e32 v125, v134, v126
	v_fma_f64 v[128:129], v[108:109], s[20:21], s[16:17]
	v_add_nc_u32_e32 v124, 0x77620, v1
	v_fma_f64 v[52:53], v[112:113], v[52:53], s[14:15]
	s_delay_alu instid0(VALU_DEP_4)
	v_cndmask_b32_e64 v132, -v126, v125, vcc_lo
	v_fma_f64 v[126:127], v[104:105], s[28:29], v[66:67]
	v_cmp_eq_u32_e32 vcc_lo, 37, v0
	v_ashrrev_i32_e32 v125, 31, v124
	v_fma_f64 v[36:37], v[110:111], v[36:37], s[40:41]
	v_cndmask_b32_e64 v135, -v130, v131, vcc_lo
	v_mul_f64 v[130:131], v[8:9], v[2:3]
	s_delay_alu instid0(VALU_DEP_4)
	v_lshlrev_b64 v[8:9], 3, v[124:125]
	v_cvt_f64_f32_e32 v[124:125], v132
	v_mul_f64 v[132:133], v[56:57], v[2:3]
	v_fma_f64 v[116:117], v[106:107], v[116:117], s[18:19]
	v_fma_f64 v[72:73], v[96:97], v[72:73], s[40:41]
	v_fma_f64 v[118:119], v[118:119], v[122:123], 1.0
	v_cvt_f64_f32_e32 v[122:123], v135
	v_add_co_u32 v56, vcc_lo, s24, v8
	v_add_co_ci_u32_e32 v57, vcc_lo, s25, v9, vcc_lo
	v_fma_f64 v[135:136], v[114:115], v[82:83], s[40:41]
	v_cmp_eq_u32_e32 vcc_lo, 38, v0
	global_load_b64 v[82:83], v[56:57], off
	s_clause 0x1
	global_store_b64 v[60:61], v[124:125], off
	global_store_b64 v[16:17], v[122:123], off
	v_fma_f64 v[120:121], v[102:103], v[120:121], s[30:31]
	v_fma_f64 v[56:57], v[104:105], s[26:27], v[126:127]
	;; [unrolled: 1-line block ×5, first 2 shown]
	v_add_nc_u32_e32 v52, 0x7983c, v1
	v_cndmask_b32_e64 v128, -v137, v139, vcc_lo
	v_sub_f32_e32 v129, v134, v138
	v_cmp_eq_u32_e32 vcc_lo, 39, v0
	v_fma_f64 v[36:37], v[110:111], v[36:37], 1.0
	v_ashrrev_i32_e32 v53, 31, v52
	v_fma_f64 v[72:73], v[96:97], v[72:73], 1.0
	s_waitcnt vmcnt(4)
	v_mul_f64 v[122:123], v[54:55], s[38:39]
	v_cndmask_b32_e64 v143, -v138, v129, vcc_lo
	v_add_co_u32 v124, vcc_lo, s22, v14
	v_add_nc_u32_e32 v16, 0x7ba58, v1
	v_add_co_ci_u32_e32 v125, vcc_lo, s23, v15, vcc_lo
	v_lshlrev_b64 v[14:15], 3, v[52:53]
	v_cvt_f32_f64_e32 v145, v[132:133]
	s_delay_alu instid0(VALU_DEP_4)
	v_ashrrev_i32_e32 v17, 31, v16
	v_fma_f64 v[60:61], v[114:115], v[135:136], 1.0
	v_cvt_f32_f64_e32 v144, v[130:131]
	v_ldexp_f64 v[118:119], v[118:119], v140
	v_add_co_u32 v52, vcc_lo, s24, v14
	v_add_co_ci_u32_e32 v53, vcc_lo, s25, v15, vcc_lo
	v_lshlrev_b64 v[16:17], 3, v[16:17]
	s_waitcnt vmcnt(2)
	v_mul_f64 v[139:140], v[68:69], s[38:39]
	v_cvt_f64_f32_e32 v[128:129], v128
	global_load_b64 v[52:53], v[52:53], off
	v_add_co_u32 v130, vcc_lo, s24, v16
	v_add_co_ci_u32_e32 v131, vcc_lo, s25, v17, vcc_lo
	v_fma_f64 v[120:121], v[102:103], v[120:121], s[34:35]
	v_fma_f64 v[132:133], v[56:57], s[20:21], s[16:17]
	;; [unrolled: 1-line block ×4, first 2 shown]
	global_load_b64 v[44:45], v[130:131], off
	v_mul_f64 v[130:131], v[78:79], v[2:3]
	v_fma_f64 v[126:127], v[112:113], v[126:127], s[12:13]
	v_fma_f64 v[137:138], v[110:111], v[36:37], 1.0
	v_add_nc_u32_e32 v36, 0x7dc74, v1
	v_fma_f64 v[141:142], v[96:97], v[72:73], 1.0
	v_rndne_f64_e32 v[110:111], v[122:123]
	s_delay_alu instid0(VALU_DEP_3) | instskip(NEXT) | instid1(VALU_DEP_1)
	v_ashrrev_i32_e32 v37, 31, v36
	v_lshlrev_b64 v[36:37], 3, v[36:37]
	v_sub_f32_e32 v122, v134, v145
	v_fma_f64 v[60:61], v[114:115], v[60:61], 1.0
	v_cvt_i32_f64_e32 v114, v[100:101]
	v_sub_f32_e32 v115, v134, v144
	v_add_co_u32 v78, vcc_lo, s24, v36
	v_add_co_ci_u32_e32 v79, vcc_lo, s25, v37, vcc_lo
	v_cmp_eq_u32_e32 vcc_lo, 40, v0
	v_rndne_f64_e32 v[96:97], v[139:140]
	global_load_b64 v[78:79], v[78:79], off
	v_cndmask_b32_e64 v115, -v144, v115, vcc_lo
	v_cmp_eq_u32_e32 vcc_lo, 41, v0
	v_cvt_i32_f64_e32 v144, v[98:99]
	v_fma_f64 v[72:73], v[102:103], v[120:121], s[36:37]
	v_fma_f64 v[100:101], v[56:57], v[132:133], s[14:15]
	;; [unrolled: 1-line block ×4, first 2 shown]
	v_cvt_f64_f32_e32 v[120:121], v143
	v_cvt_f32_f64_e32 v143, v[130:131]
	v_cndmask_b32_e64 v98, -v145, v122, vcc_lo
	v_cmp_nlt_f64_e32 vcc_lo, 0x40900000, v[70:71]
	v_fma_f64 v[126:127], v[112:113], v[126:127], s[18:19]
	v_cvt_f64_f32_e32 v[130:131], v115
	global_store_b64 v[22:23], v[128:129], off
	v_fma_f64 v[70:71], v[110:111], s[28:29], v[54:55]
	v_cvt_f64_f32_e32 v[135:136], v98
	v_mul_f64 v[128:129], v[64:65], s[38:39]
	v_cvt_i32_f64_e32 v145, v[92:93]
	v_ldexp_f64 v[122:123], v[60:61], v114
	v_fma_f64 v[60:61], v[96:97], s[28:29], v[68:69]
	v_fma_f64 v[139:140], v[102:103], v[72:73], s[40:41]
	;; [unrolled: 1-line block ×5, first 2 shown]
	global_store_b64 v[124:125], v[120:121], off
	s_waitcnt vmcnt(4)
	v_mul_f64 v[72:73], v[76:77], s[38:39]
	v_sub_f32_e32 v100, v134, v143
	v_cndmask_b32_e32 v119, 0x7ff00000, v119, vcc_lo
	v_fma_f64 v[92:93], v[112:113], v[126:127], s[30:31]
	s_and_b32 vcc_lo, s0, vcc_lo
	v_add_nc_u32_e32 v132, 0x820ac, v1
	v_cndmask_b32_e64 v100, -v143, v100, s1
	v_add_co_u32 v34, s1, s22, v34
	s_delay_alu instid0(VALU_DEP_1) | instskip(SKIP_1) | instid1(VALU_DEP_1)
	v_add_co_ci_u32_e64 v35, s1, s23, v35, s1
	v_add_co_u32 v116, s1, s22, v46
	v_add_co_ci_u32_e64 v117, s1, s23, v47, s1
	v_fma_f64 v[46:47], v[110:111], s[26:27], v[70:71]
	s_clause 0x1
	global_store_b64 v[20:21], v[130:131], off
	global_store_b64 v[34:35], v[135:136], off
	v_add_nc_u32_e32 v20, 0x7fe90, v1
	v_cndmask_b32_e64 v119, 0, v119, s0
	v_cndmask_b32_e32 v118, 0, v118, vcc_lo
	v_cmp_nlt_f64_e32 vcc_lo, 0x40900000, v[74:75]
	v_cmp_ngt_f64_e64 s0, 0xc090cc00, v[74:75]
	v_ashrrev_i32_e32 v21, 31, v20
	v_rndne_f64_e32 v[34:35], v[128:129]
	v_ashrrev_i32_e32 v133, 31, v132
	v_fma_f64 v[120:121], v[96:97], s[26:27], v[60:61]
	v_ldexp_f64 v[124:125], v[141:142], v144
	v_ldexp_f64 v[126:127], v[137:138], v145
	v_mul_f64 v[118:119], v[118:119], v[2:3]
	v_cvt_f64_f32_e32 v[100:101], v100
	v_cvt_i32_f64_e32 v143, v[110:111]
	v_cvt_i32_f64_e32 v96, v[96:97]
	v_fma_f64 v[70:71], v[102:103], v[139:140], 1.0
	v_fma_f64 v[74:75], v[56:57], v[114:115], s[12:13]
	v_add_nc_u32_e32 v114, 0x842c8, v1
	v_fma_f64 v[130:131], v[106:107], v[22:23], 1.0
	v_lshlrev_b64 v[22:23], 3, v[20:21]
	v_fma_f64 v[128:129], v[108:109], v[98:99], s[30:31]
	v_rndne_f64_e32 v[98:99], v[72:73]
	v_ashrrev_i32_e32 v115, 31, v114
	v_fma_f64 v[92:93], v[112:113], v[92:93], s[34:35]
	v_add_co_u32 v72, s1, s24, v22
	s_delay_alu instid0(VALU_DEP_3) | instskip(SKIP_1) | instid1(VALU_DEP_2)
	v_lshlrev_b64 v[20:21], 3, v[114:115]
	v_add_co_ci_u32_e64 v73, s1, s25, v23, s1
	v_add_co_u32 v60, s1, s24, v20
	s_delay_alu instid0(VALU_DEP_1) | instskip(SKIP_3) | instid1(VALU_DEP_1)
	v_add_co_ci_u32_e64 v61, s1, s25, v21, s1
	v_cmp_nlt_f64_e64 s1, 0x40900000, v[32:33]
	v_lshlrev_b64 v[32:33], 3, v[132:133]
	v_add_co_u32 v132, s3, s22, v24
	v_add_co_ci_u32_e64 v133, s3, s23, v25, s3
	v_fma_f64 v[114:115], v[46:47], s[20:21], s[16:17]
	s_clause 0x1
	global_load_b64 v[60:61], v[60:61], off
	global_load_b64 v[72:73], v[72:73], off
	v_fma_f64 v[24:25], v[34:35], s[28:29], v[64:65]
	v_cndmask_b32_e32 v123, 0x7ff00000, v123, vcc_lo
	s_and_b32 vcc_lo, s0, vcc_lo
	v_cndmask_b32_e32 v122, 0, v122, vcc_lo
	s_delay_alu instid0(VALU_DEP_2) | instskip(SKIP_3) | instid1(VALU_DEP_1)
	v_cndmask_b32_e64 v123, 0, v123, s0
	v_cmp_ngt_f64_e64 s0, 0xc090cc00, v[88:89]
	v_fma_f64 v[102:103], v[102:103], v[70:71], 1.0
	v_add_co_u32 v70, s3, s24, v32
	v_add_co_ci_u32_e64 v71, s3, s25, v33, s3
	v_cmp_nlt_f64_e64 s3, 0x40900000, v[50:51]
	v_fma_f64 v[74:75], v[56:57], v[74:75], s[18:19]
	v_fma_f64 v[106:107], v[106:107], v[130:131], 1.0
	global_load_b64 v[70:71], v[70:71], off
	v_fma_f64 v[135:136], v[112:113], v[92:93], s[36:37]
	v_fma_f64 v[130:131], v[98:99], s[28:29], v[76:77]
	;; [unrolled: 1-line block ×3, first 2 shown]
	v_mul_f64 v[122:123], v[122:123], v[2:3]
	v_cndmask_b32_e64 v139, 0x7ff00000, v125, s1
	s_and_b32 vcc_lo, s2, s1
	v_fma_f64 v[137:138], v[46:47], v[114:115], s[14:15]
	v_fma_f64 v[114:115], v[34:35], s[26:27], v[24:25]
	v_cndmask_b32_e64 v125, 0x7ff00000, v127, s3
	v_fma_f64 v[127:128], v[108:109], v[128:129], s[34:35]
	v_cvt_i32_f64_e32 v129, v[90:91]
	v_fma_f64 v[24:25], v[56:57], v[74:75], s[30:31]
	v_fma_f64 v[90:91], v[112:113], v[135:136], s[40:41]
	;; [unrolled: 1-line block ×3, first 2 shown]
	v_cvt_i32_f64_e32 v131, v[94:95]
	v_fma_f64 v[50:51], v[120:121], v[50:51], s[14:15]
	s_and_b32 s3, s4, s3
	v_cndmask_b32_e64 v130, 0, v125, s4
	v_cndmask_b32_e32 v135, 0, v124, vcc_lo
	v_cmp_nlt_f64_e32 vcc_lo, 0x40900000, v[88:89]
	v_add_nc_u32_e32 v88, 0x864e4, v1
	v_cndmask_b32_e64 v136, 0, v139, s2
	v_cmp_ngt_f64_e64 s2, 0xc090cc00, v[86:87]
	s_delay_alu instid0(VALU_DEP_3)
	v_ashrrev_i32_e32 v89, 31, v88
	v_fma_f64 v[94:95], v[114:115], s[20:21], s[16:17]
	v_fma_f64 v[74:75], v[108:109], v[127:128], s[36:37]
	;; [unrolled: 1-line block ×4, first 2 shown]
	v_fma_f64 v[90:91], v[112:113], v[90:91], 1.0
	v_ldexp_f64 v[102:103], v[102:103], v129
	v_cndmask_b32_e64 v129, 0, v126, s3
	v_fma_f64 v[125:126], v[92:93], s[20:21], s[16:17]
	v_fma_f64 v[50:51], v[120:121], v[50:51], s[10:11]
	v_ldexp_f64 v[139:140], v[106:107], v131
	v_cmp_eq_u32_e64 s3, 46, v0
	s_waitcnt vmcnt(6)
	v_mul_f64 v[137:138], v[82:83], s[38:39]
	v_fma_f64 v[94:95], v[114:115], v[94:95], s[14:15]
	v_fma_f64 v[74:75], v[108:109], v[74:75], s[40:41]
	;; [unrolled: 1-line block ×4, first 2 shown]
	v_lshlrev_b64 v[24:25], 3, v[88:89]
	v_fma_f64 v[90:91], v[112:113], v[90:91], 1.0
	v_cndmask_b32_e32 v103, 0x7ff00000, v103, vcc_lo
	v_fma_f64 v[124:125], v[92:93], v[125:126], s[14:15]
	v_fma_f64 v[50:51], v[120:121], v[50:51], s[12:13]
	v_cvt_i32_f64_e32 v126, v[40:41]
	s_and_b32 vcc_lo, s0, vcc_lo
	v_rndne_f64_e32 v[106:107], v[137:138]
	v_cvt_f32_f64_e32 v137, v[118:119]
	v_cvt_i32_f64_e32 v138, v[84:85]
	v_mul_f64 v[118:119], v[129:130], v[2:3]
	v_fma_f64 v[94:95], v[114:115], v[94:95], s[10:11]
	v_fma_f64 v[88:89], v[108:109], v[74:75], 1.0
	v_fma_f64 v[112:113], v[46:47], v[127:128], s[18:19]
	v_add_co_u32 v74, s1, s24, v24
	s_delay_alu instid0(VALU_DEP_1)
	v_add_co_ci_u32_e64 v75, s1, s25, v25, s1
	v_cmp_nlt_f64_e64 s1, 0x40900000, v[86:87]
	s_waitcnt vmcnt(5)
	v_mul_f64 v[86:87], v[52:53], s[38:39]
	v_fma_f64 v[40:41], v[56:57], v[141:142], s[40:41]
	global_load_b64 v[74:75], v[74:75], off
	v_fma_f64 v[124:125], v[92:93], v[124:125], s[10:11]
	v_fma_f64 v[50:51], v[120:121], v[50:51], s[18:19]
	v_ldexp_f64 v[126:127], v[90:91], v126
	v_cvt_f32_f64_e32 v141, v[122:123]
	v_fma_f64 v[84:85], v[114:115], v[94:95], s[12:13]
	v_fma_f64 v[94:95], v[106:107], s[28:29], v[82:83]
	v_fma_f64 v[108:109], v[108:109], v[88:89], 1.0
	s_waitcnt vmcnt(5)
	v_mul_f64 v[88:89], v[44:45], s[38:39]
	v_fma_f64 v[112:113], v[46:47], v[112:113], s[30:31]
	s_waitcnt vmcnt(4)
	v_cmp_ngt_f64_e64 s4, 0xc090cc00, v[78:79]
	v_cndmask_b32_e64 v128, 0x7ff00000, v140, s1
	v_rndne_f64_e32 v[86:87], v[86:87]
	v_fma_f64 v[40:41], v[56:57], v[40:41], 1.0
	s_and_b32 s1, s2, s1
	v_fma_f64 v[90:91], v[92:93], v[124:125], s[12:13]
	v_mul_f64 v[124:125], v[78:79], s[38:39]
	v_cndmask_b32_e64 v129, 0, v128, s2
	v_cndmask_b32_e64 v128, 0, v139, s1
	v_cvt_f32_f64_e32 v139, v[118:119]
	v_fma_f64 v[50:51], v[120:121], v[50:51], s[30:31]
	v_cvt_i32_f64_e32 v140, v[104:105]
	v_sub_f32_e32 v104, v134, v137
	v_cmp_eq_u32_e64 s1, 43, v0
	v_cmp_ngt_f64_e64 s2, 0xc090cc00, v[80:81]
	s_delay_alu instid0(VALU_DEP_2)
	v_cndmask_b32_e64 v104, -v137, v104, s1
	v_cmp_nlt_f64_e64 s1, 0x40900000, v[80:81]
	v_fma_f64 v[84:85], v[114:115], v[84:85], s[18:19]
	v_mul_f64 v[80:81], v[128:129], v[2:3]
	v_rndne_f64_e32 v[88:89], v[88:89]
	v_fma_f64 v[130:131], v[46:47], v[112:113], s[34:35]
	v_fma_f64 v[112:113], v[106:107], s[26:27], v[94:95]
	v_mul_f64 v[94:95], v[135:136], v[2:3]
	v_fma_f64 v[135:136], v[86:87], s[28:29], v[52:53]
	v_fma_f64 v[40:41], v[56:57], v[40:41], 1.0
	v_fma_f64 v[56:57], v[92:93], v[90:91], s[18:19]
	v_rndne_f64_e32 v[90:91], v[124:125]
	v_fma_f64 v[50:51], v[120:121], v[50:51], s[34:35]
	v_fma_f64 v[84:85], v[114:115], v[84:85], s[30:31]
	;; [unrolled: 1-line block ×4, first 2 shown]
	v_cvt_f64_f32_e32 v[129:130], v104
	v_cvt_f32_f64_e32 v137, v[94:95]
	v_cndmask_b32_e32 v94, 0, v102, vcc_lo
	v_cmp_eq_u32_e32 vcc_lo, 44, v0
	v_fma_f64 v[104:105], v[86:87], s[26:27], v[135:136]
	v_sub_f32_e32 v135, v134, v139
	v_sub_f32_e32 v136, v134, v141
	v_cndmask_b32_e64 v131, 0x7ff00000, v127, s1
	v_ldexp_f64 v[127:128], v[108:109], v138
	v_fma_f64 v[124:125], v[112:113], s[20:21], s[16:17]
	v_cndmask_b32_e64 v135, -v139, v135, vcc_lo
	v_cmp_eq_u32_e32 vcc_lo, 45, v0
	v_cndmask_b32_e64 v95, 0, v103, s0
	v_fma_f64 v[56:57], v[92:93], v[56:57], s[30:31]
	v_fma_f64 v[102:103], v[90:91], s[28:29], v[78:79]
	s_clause 0x1
	global_store_b64 v[116:117], v[100:101], off
	global_store_b64 v[132:133], v[129:130], off
	v_fma_f64 v[108:109], v[88:89], s[26:27], v[118:119]
	v_fma_f64 v[118:119], v[46:47], v[122:123], s[40:41]
	v_cndmask_b32_e64 v122, -v141, v136, vcc_lo
	s_and_b32 vcc_lo, s2, s1
	v_mul_f64 v[94:95], v[94:95], v[2:3]
	v_fma_f64 v[50:51], v[120:121], v[50:51], s[36:37]
	v_cvt_f32_f64_e32 v139, v[80:81]
	v_cvt_f64_f32_e32 v[116:117], v122
	v_cndmask_b32_e32 v122, 0, v126, vcc_lo
	v_cmp_nlt_f64_e32 vcc_lo, 0x40900000, v[62:63]
	v_cmp_ngt_f64_e64 s0, 0xc090cc00, v[62:63]
	v_fma_f64 v[80:81], v[114:115], v[84:85], s[34:35]
	v_fma_f64 v[84:85], v[112:113], v[124:125], s[14:15]
	v_cvt_f64_f32_e32 v[100:101], v135
	v_cndmask_b32_e64 v123, 0, v131, s2
	s_waitcnt vmcnt(2)
	v_mul_f64 v[124:125], v[72:73], s[38:39]
	v_fma_f64 v[56:57], v[92:93], v[56:57], s[34:35]
	v_fma_f64 v[62:63], v[90:91], s[26:27], v[102:103]
	s_waitcnt vmcnt(1)
	v_mul_f64 v[102:103], v[70:71], s[38:39]
	v_add_co_u32 v12, s1, s22, v12
	s_delay_alu instid0(VALU_DEP_1)
	v_add_co_ci_u32_e64 v13, s1, s23, v13, s1
	v_cmp_nlt_f64_e64 s1, 0x40900000, v[66:67]
	v_cmp_ngt_f64_e64 s2, 0xc090cc00, v[66:67]
	v_ldexp_f64 v[40:41], v[40:41], v140
	v_sub_f32_e32 v132, v134, v137
	v_mul_f64 v[122:123], v[122:123], v[2:3]
	s_delay_alu instid0(VALU_DEP_2) | instskip(SKIP_1) | instid1(VALU_DEP_1)
	v_cndmask_b32_e64 v66, -v137, v132, s3
	v_add_co_u32 v28, s3, s22, v28
	v_add_co_ci_u32_e64 v29, s3, s23, v29, s3
	v_add_co_u32 v137, s3, s22, v30
	v_fma_f64 v[130:131], v[108:109], s[20:21], s[16:17]
	v_add_co_ci_u32_e64 v138, s3, s23, v31, s3
	v_cvt_f64_f32_e32 v[132:133], v66
	v_cvt_f32_f64_e32 v140, v[94:95]
	v_fma_f64 v[94:95], v[46:47], v[118:119], 1.0
	v_fma_f64 v[50:51], v[120:121], v[50:51], s[40:41]
	v_sub_f32_e32 v66, v134, v139
	v_cmp_eq_u32_e64 s3, 47, v0
	v_cndmask_b32_e32 v126, 0x7ff00000, v128, vcc_lo
	v_fma_f64 v[128:129], v[104:105], s[20:21], s[16:17]
	s_and_b32 vcc_lo, s0, vcc_lo
	v_fma_f64 v[135:136], v[112:113], v[84:85], s[10:11]
	s_clause 0x1
	global_store_b64 v[12:13], v[100:101], off
	global_store_b64 v[28:29], v[116:117], off
	v_cndmask_b32_e64 v141, -v139, v66, s3
	v_rndne_f64_e32 v[84:85], v[124:125]
	v_cndmask_b32_e64 v13, 0, v126, s0
	v_cndmask_b32_e32 v12, 0, v127, vcc_lo
	v_fma_f64 v[56:57], v[92:93], v[56:57], s[36:37]
	v_rndne_f64_e32 v[66:67], v[102:103]
	v_fma_f64 v[80:81], v[114:115], v[80:81], s[36:37]
	v_add_co_u32 v116, vcc_lo, s22, v58
	v_add_co_ci_u32_e32 v117, vcc_lo, s23, v59, vcc_lo
	v_mul_f64 v[100:101], v[12:13], v[2:3]
	v_add_nc_u32_e32 v12, 0x88700, v1
	s_and_b32 vcc_lo, s2, s1
	v_add_nc_u32_e32 v28, 0x8a91c, v1
	v_cndmask_b32_e32 v40, 0, v40, vcc_lo
	v_cmp_eq_u32_e32 vcc_lo, 48, v0
	v_ashrrev_i32_e32 v13, 31, v12
	v_cvt_f32_f64_e32 v119, v[122:123]
	v_cvt_f64_f32_e32 v[110:111], v141
	v_cmp_ngt_f64_e64 s0, 0xc090cc00, v[68:69]
	v_cndmask_b32_e64 v41, 0x7ff00000, v41, s1
	v_lshlrev_b64 v[30:31], 3, v[12:13]
	v_add_co_u32 v6, s3, s22, v6
	v_fma_f64 v[126:127], v[108:109], v[130:131], s[14:15]
	s_delay_alu instid0(VALU_DEP_4)
	v_cndmask_b32_e64 v41, 0, v41, s2
	v_cmp_ngt_f64_e64 s2, 0xc090cc00, v[76:77]
	v_sub_f32_e32 v29, v134, v140
	v_fma_f64 v[58:59], v[46:47], v[94:95], 1.0
	v_add_nc_u32_e32 v46, 0x8cb38, v1
	v_fma_f64 v[122:123], v[120:121], v[50:51], 1.0
	v_mul_f64 v[40:41], v[40:41], v[2:3]
	v_cndmask_b32_e64 v118, -v140, v29, vcc_lo
	v_fma_f64 v[124:125], v[104:105], v[128:129], s[14:15]
	v_fma_f64 v[128:129], v[62:63], s[20:21], s[16:17]
	v_ashrrev_i32_e32 v29, 31, v28
	v_ashrrev_i32_e32 v47, 31, v46
	v_add_co_u32 v50, vcc_lo, s24, v30
	v_add_co_ci_u32_e32 v51, vcc_lo, s25, v31, vcc_lo
	s_delay_alu instid0(VALU_DEP_4) | instskip(NEXT) | instid1(VALU_DEP_4)
	v_lshlrev_b64 v[28:29], 3, v[28:29]
	v_lshlrev_b64 v[12:13], 3, v[46:47]
	v_fma_f64 v[94:95], v[112:113], v[135:136], s[12:13]
	v_fma_f64 v[102:103], v[84:85], s[28:29], v[72:73]
	;; [unrolled: 1-line block ×4, first 2 shown]
	v_add_co_u32 v46, vcc_lo, s24, v28
	v_add_co_ci_u32_e32 v47, vcc_lo, s25, v29, vcc_lo
	v_add_co_u32 v130, vcc_lo, s24, v12
	v_add_co_ci_u32_e32 v131, vcc_lo, s25, v13, vcc_lo
	s_clause 0x2
	global_load_b64 v[56:57], v[50:51], off
	global_load_b64 v[50:51], v[46:47], off
	;; [unrolled: 1-line block ×3, first 2 shown]
	v_fma_f64 v[130:131], v[66:67], s[28:29], v[70:71]
	v_mul_f64 v[139:140], v[60:61], s[38:39]
	s_clause 0x1
	global_store_b64 v[137:138], v[132:133], off
	global_store_b64 v[116:117], v[110:111], off
	v_add_co_u32 v110, vcc_lo, s22, v38
	v_fma_f64 v[126:127], v[108:109], v[126:127], s[10:11]
	v_add_nc_u32_e32 v38, 0x90f70, v1
	v_cvt_i32_f64_e32 v133, v[34:35]
	v_add_nc_u32_e32 v34, 0x9318c, v1
	v_add_co_ci_u32_e32 v111, vcc_lo, s23, v39, vcc_lo
	v_fma_f64 v[121:122], v[120:121], v[122:123], 1.0
	v_cvt_f32_f64_e32 v120, v[100:101]
	v_ashrrev_i32_e32 v39, 31, v38
	v_fma_f64 v[124:125], v[104:105], v[124:125], s[10:11]
	v_fma_f64 v[128:129], v[62:63], v[128:129], s[14:15]
	v_ashrrev_i32_e32 v35, 31, v34
	v_add_co_u32 v116, vcc_lo, s22, v48
	v_lshlrev_b64 v[38:39], 3, v[38:39]
	v_add_co_ci_u32_e32 v117, vcc_lo, s23, v49, vcc_lo
	s_delay_alu instid0(VALU_DEP_4)
	v_lshlrev_b64 v[34:35], 3, v[34:35]
	v_add_co_ci_u32_e64 v7, s3, s23, v7, s3
	v_fma_f64 v[102:103], v[84:85], s[26:27], v[102:103]
	v_fma_f64 v[94:95], v[112:113], v[94:95], s[18:19]
	v_fma_f64 v[135:136], v[92:93], v[135:136], 1.0
	v_fma_f64 v[141:142], v[114:115], v[80:81], 1.0
	v_add_co_u32 v48, vcc_lo, s24, v38
	v_add_co_ci_u32_e32 v49, vcc_lo, s25, v39, vcc_lo
	v_add_co_u32 v10, s3, s22, v10
	s_delay_alu instid0(VALU_DEP_1)
	v_add_co_ci_u32_e64 v11, s3, s23, v11, s3
	v_fma_f64 v[100:101], v[66:67], s[26:27], v[130:131]
	v_rndne_f64_e32 v[80:81], v[139:140]
	v_ldexp_f64 v[131:132], v[58:59], v143
	v_cvt_f32_f64_e32 v139, v[40:41]
	v_ldexp_f64 v[96:97], v[121:122], v96
	v_fma_f64 v[123:124], v[104:105], v[124:125], s[12:13]
	v_fma_f64 v[125:126], v[108:109], v[126:127], s[12:13]
	;; [unrolled: 1-line block ×4, first 2 shown]
	s_waitcnt vmcnt(3)
	v_mul_f64 v[121:122], v[74:75], s[38:39]
	v_fma_f64 v[94:95], v[112:113], v[94:95], s[30:31]
	v_fma_f64 v[135:136], v[92:93], v[135:136], 1.0
	v_add_co_u32 v92, vcc_lo, s24, v34
	v_add_co_ci_u32_e32 v93, vcc_lo, s25, v35, vcc_lo
	v_cmp_nlt_f64_e32 vcc_lo, 0x40900000, v[68:69]
	s_clause 0x1
	global_load_b64 v[58:59], v[48:49], off
	global_load_b64 v[48:49], v[92:93], off
	v_fma_f64 v[114:115], v[114:115], v[141:142], 1.0
	v_cvt_i32_f64_e32 v142, v[90:91]
	v_fma_f64 v[137:138], v[100:101], s[20:21], s[16:17]
	v_fma_f64 v[68:69], v[80:81], s[28:29], v[60:61]
	;; [unrolled: 1-line block ×5, first 2 shown]
	v_rndne_f64_e32 v[92:93], v[121:122]
	v_fma_f64 v[121:122], v[102:103], v[129:130], s[14:15]
	v_fma_f64 v[129:130], v[112:113], v[94:95], s[34:35]
	v_cndmask_b32_e32 v97, 0x7ff00000, v97, vcc_lo
	s_and_b32 vcc_lo, s0, vcc_lo
	v_ldexp_f64 v[114:115], v[114:115], v133
	v_cvt_i32_f64_e32 v133, v[98:99]
	v_fma_f64 v[137:138], v[100:101], v[137:138], s[14:15]
	v_fma_f64 v[94:95], v[80:81], s[26:27], v[68:69]
	v_cndmask_b32_e64 v69, 0, v97, s0
	v_cndmask_b32_e32 v68, 0, v96, vcc_lo
	v_cmp_nlt_f64_e32 vcc_lo, 0x40900000, v[54:55]
	v_cmp_ngt_f64_e64 s0, 0xc090cc00, v[54:55]
	s_delay_alu instid0(VALU_DEP_3)
	v_mul_f64 v[68:69], v[68:69], v[2:3]
	v_fma_f64 v[123:124], v[104:105], v[123:124], s[30:31]
	v_fma_f64 v[125:126], v[108:109], v[125:126], s[30:31]
	;; [unrolled: 1-line block ×6, first 2 shown]
	v_ldexp_f64 v[135:136], v[135:136], v133
	v_fma_f64 v[137:138], v[100:101], v[137:138], s[10:11]
	v_fma_f64 v[54:55], v[94:95], s[20:21], s[16:17]
	v_cvt_i32_f64_e32 v133, v[106:107]
	v_cndmask_b32_e32 v132, 0x7ff00000, v132, vcc_lo
	s_and_b32 vcc_lo, s0, vcc_lo
	v_cndmask_b32_e32 v98, 0, v131, vcc_lo
	v_cmp_nlt_f64_e32 vcc_lo, 0x40900000, v[64:65]
	s_delay_alu instid0(VALU_DEP_3)
	v_cndmask_b32_e64 v99, 0, v132, s0
	v_cmp_ngt_f64_e64 s0, 0xc090cc00, v[64:65]
	v_cvt_f32_f64_e32 v141, v[68:69]
	v_fma_f64 v[123:124], v[104:105], v[123:124], s[34:35]
	v_fma_f64 v[125:126], v[108:109], v[125:126], s[34:35]
	;; [unrolled: 1-line block ×3, first 2 shown]
	v_mul_f64 v[98:99], v[98:99], v[2:3]
	v_fma_f64 v[96:97], v[92:93], s[26:27], v[40:41]
	v_fma_f64 v[40:41], v[102:103], v[121:122], s[12:13]
	;; [unrolled: 1-line block ×5, first 2 shown]
	v_cndmask_b32_e32 v115, 0x7ff00000, v115, vcc_lo
	s_and_b32 vcc_lo, s0, vcc_lo
	v_cndmask_b32_e32 v90, 0, v114, vcc_lo
	v_cmp_nlt_f64_e32 vcc_lo, 0x40900000, v[82:83]
	v_fma_f64 v[123:124], v[104:105], v[123:124], s[36:37]
	v_fma_f64 v[125:126], v[108:109], v[125:126], s[36:37]
	;; [unrolled: 1-line block ×3, first 2 shown]
	v_cndmask_b32_e64 v91, 0, v115, s0
	v_cmp_ngt_f64_e64 s0, 0xc090cc00, v[82:83]
	s_delay_alu instid0(VALU_DEP_2)
	v_mul_f64 v[90:91], v[90:91], v[2:3]
	v_fma_f64 v[131:132], v[96:97], s[20:21], s[16:17]
	v_fma_f64 v[40:41], v[102:103], v[40:41], s[18:19]
	v_fma_f64 v[121:122], v[112:113], v[121:122], 1.0
	v_fma_f64 v[129:130], v[100:101], v[129:130], s[18:19]
	v_fma_f64 v[137:138], v[94:95], v[54:55], s[10:11]
	;; [unrolled: 1-line block ×7, first 2 shown]
	v_fma_f64 v[112:113], v[112:113], v[121:122], 1.0
	v_add_nc_u32_e32 v40, 0x8ed54, v1
	s_delay_alu instid0(VALU_DEP_1) | instskip(NEXT) | instid1(VALU_DEP_1)
	v_ashrrev_i32_e32 v41, 31, v40
	v_lshlrev_b64 v[40:41], 3, v[40:41]
	s_delay_alu instid0(VALU_DEP_1) | instskip(NEXT) | instid1(VALU_DEP_1)
	v_add_co_u32 v54, s1, s24, v40
	v_add_co_ci_u32_e64 v55, s1, s25, v41, s1
	v_cmp_eq_u32_e64 s1, 49, v0
	v_fma_f64 v[121:122], v[104:105], v[123:124], 1.0
	v_fma_f64 v[125:126], v[108:109], v[125:126], 1.0
	v_fma_f64 v[123:124], v[62:63], v[127:128], s[40:41]
	v_fma_f64 v[127:128], v[100:101], v[129:130], s[30:31]
	;; [unrolled: 1-line block ×3, first 2 shown]
	v_sub_f32_e32 v137, v134, v119
	global_load_b64 v[54:55], v[54:55], off
	v_cndmask_b32_e64 v137, -v119, v137, s1
	v_sub_f32_e32 v119, v134, v120
	v_cmp_eq_u32_e64 s1, 50, v0
	v_fma_f64 v[106:107], v[102:103], v[131:132], s[34:35]
	v_fma_f64 v[64:65], v[96:97], v[64:65], s[10:11]
	v_cvt_f64_f32_e32 v[131:132], v118
	s_delay_alu instid0(VALU_DEP_4) | instskip(SKIP_2) | instid1(VALU_DEP_1)
	v_cndmask_b32_e64 v138, -v120, v119, s1
	v_sub_f32_e32 v119, v134, v139
	v_cmp_eq_u32_e64 s1, 51, v0
	v_cndmask_b32_e64 v139, -v139, v119, s1
	v_cmp_nlt_f64_e64 s1, 0x40900000, v[76:77]
	v_ldexp_f64 v[76:77], v[112:113], v133
	v_cvt_f64_f32_e32 v[112:113], v137
	v_cvt_i32_f64_e32 v133, v[88:89]
	v_cvt_f64_f32_e32 v[88:89], v138
	v_cvt_i32_f64_e32 v138, v[86:87]
	v_cvt_f64_f32_e32 v[86:87], v139
	v_cvt_f32_f64_e32 v139, v[98:99]
	s_clause 0x3
	global_store_b64 v[110:111], v[131:132], off
	global_store_b64 v[116:117], v[112:113], off
	global_store_b64 v[6:7], v[88:89], off
	global_store_b64 v[10:11], v[86:87], off
	v_fma_f64 v[104:105], v[104:105], v[121:122], 1.0
	v_fma_f64 v[119:120], v[62:63], v[123:124], 1.0
	v_fma_f64 v[121:122], v[100:101], v[127:128], s[34:35]
	v_fma_f64 v[129:130], v[94:95], v[129:130], s[18:19]
	v_fma_f64 v[108:109], v[108:109], v[125:126], 1.0
	s_waitcnt vmcnt(5)
	v_mul_f64 v[123:124], v[56:57], s[38:39]
	s_waitcnt vmcnt(4)
	v_mul_f64 v[125:126], v[50:51], s[38:39]
	;; [unrolled: 2-line block ×3, first 2 shown]
	v_fma_f64 v[106:107], v[102:103], v[106:107], s[36:37]
	v_cndmask_b32_e64 v140, 0x7ff00000, v136, s1
	v_fma_f64 v[136:137], v[96:97], v[64:65], s[12:13]
	v_add_nc_u32_e32 v6, 0x953a8, v1
	s_and_b32 s1, s2, s1
	v_sub_f32_e32 v116, v134, v141
	v_cndmask_b32_e64 v110, 0, v135, s1
	v_cndmask_b32_e32 v77, 0x7ff00000, v77, vcc_lo
	v_ashrrev_i32_e32 v7, 31, v6
	s_and_b32 vcc_lo, s0, vcc_lo
	v_dual_sub_f32 v117, v134, v139 :: v_dual_cndmask_b32 v76, 0, v76
	s_delay_alu instid0(VALU_DEP_3) | instskip(NEXT) | instid1(VALU_DEP_3)
	v_cndmask_b32_e64 v77, 0, v77, s0
	v_lshlrev_b64 v[6:7], 3, v[6:7]
	v_cmp_nlt_f64_e32 vcc_lo, 0x40900000, v[52:53]
	v_cmp_ngt_f64_e64 s0, 0xc090cc00, v[52:53]
	v_add_nc_u32_e32 v52, 0x975c4, v1
	v_cndmask_b32_e64 v111, 0, v140, s2
	v_cmp_ngt_f64_e64 s2, 0xc090cc00, v[44:45]
	v_mul_f64 v[76:77], v[76:77], v[2:3]
	s_delay_alu instid0(VALU_DEP_4)
	v_ashrrev_i32_e32 v53, 31, v52
	v_ldexp_f64 v[104:105], v[104:105], v138
	v_fma_f64 v[98:99], v[62:63], v[119:120], 1.0
	v_fma_f64 v[118:119], v[100:101], v[121:122], s[36:37]
	v_fma_f64 v[120:121], v[94:95], v[129:130], s[30:31]
	v_ldexp_f64 v[82:83], v[108:109], v133
	v_rndne_f64_e32 v[68:69], v[123:124]
	v_rndne_f64_e32 v[62:63], v[125:126]
	;; [unrolled: 1-line block ×3, first 2 shown]
	v_fma_f64 v[122:123], v[102:103], v[106:107], s[40:41]
	v_add_co_u32 v106, s3, s22, v42
	v_add_co_u32 v42, s1, s24, v6
	v_add_co_ci_u32_e64 v107, s3, s23, v43, s3
	v_add_co_ci_u32_e64 v43, s1, s25, v7, s1
	v_cmp_eq_u32_e64 s1, 52, v0
	v_fma_f64 v[114:115], v[96:97], v[136:137], s[18:19]
	v_cvt_f32_f64_e32 v130, v[90:91]
	v_cmp_nlt_f64_e64 s3, 0x40900000, v[78:79]
	global_load_b64 v[42:43], v[42:43], off
	s_waitcnt vmcnt(2)
	v_mul_f64 v[124:125], v[48:49], s[38:39]
	v_cvt_i32_f64_e32 v133, v[84:85]
	v_cmp_ngt_f64_e64 s6, 0xc090cc00, v[58:59]
	v_cmp_nlt_f64_e64 s7, 0x40900000, v[48:49]
	v_cmp_ngt_f64_e64 s8, 0xc090cc00, v[48:49]
	v_cndmask_b32_e32 v105, 0x7ff00000, v105, vcc_lo
	v_ldexp_f64 v[98:99], v[98:99], v142
	v_fma_f64 v[10:11], v[100:101], v[118:119], s[40:41]
	v_fma_f64 v[112:113], v[94:95], v[120:121], s[34:35]
	v_cndmask_b32_e64 v118, -v141, v116, s1
	v_fma_f64 v[86:87], v[68:69], s[28:29], v[56:57]
	v_fma_f64 v[88:89], v[62:63], s[28:29], v[50:51]
	;; [unrolled: 1-line block ×3, first 2 shown]
	v_cmp_eq_u32_e64 s1, 53, v0
	v_cvt_f64_f32_e32 v[118:119], v118
	v_mul_f64 v[120:121], v[110:111], v[2:3]
	s_and_b32 vcc_lo, s0, vcc_lo
	s_delay_alu instid0(VALU_DEP_3)
	v_cndmask_b32_e64 v128, -v139, v117, s1
	v_cmp_nlt_f64_e64 s1, 0x40900000, v[44:45]
	v_fma_f64 v[116:117], v[102:103], v[122:123], 1.0
	v_mul_f64 v[122:123], v[58:59], s[38:39]
	v_fma_f64 v[114:115], v[96:97], v[114:115], s[30:31]
	v_cvt_f64_f32_e32 v[110:111], v128
	v_cvt_f32_f64_e32 v128, v[76:77]
	v_add_nc_u32_e32 v76, 0x9dc18, v1
	v_rndne_f64_e32 v[78:79], v[124:125]
	s_delay_alu instid0(VALU_DEP_2)
	v_ashrrev_i32_e32 v77, 31, v76
	v_cndmask_b32_e64 v99, 0x7ff00000, v99, s3
	v_fma_f64 v[126:127], v[100:101], v[10:11], 1.0
	v_lshlrev_b64 v[10:11], 3, v[52:53]
	v_fma_f64 v[52:53], v[94:95], v[112:113], s[36:37]
	v_fma_f64 v[90:91], v[68:69], s[26:27], v[86:87]
	;; [unrolled: 1-line block ×4, first 2 shown]
	v_add_co_u32 v44, s5, s24, v10
	s_delay_alu instid0(VALU_DEP_1)
	v_add_co_ci_u32_e64 v45, s5, s25, v11, s5
	v_add_co_u32 v108, s5, s22, v18
	global_store_b64 v[106:107], v[118:119], off
	global_load_b64 v[44:45], v[44:45], off
	v_sub_f32_e32 v18, v134, v130
	v_cndmask_b32_e32 v118, 0, v104, vcc_lo
	v_cmp_eq_u32_e32 vcc_lo, 54, v0
	v_add_co_ci_u32_e64 v109, s5, s23, v19, s5
	v_cvt_f32_f64_e32 v129, v[120:121]
	v_fma_f64 v[102:103], v[102:103], v[116:117], 1.0
	v_cndmask_b32_e64 v130, -v130, v18, vcc_lo
	v_add_nc_u32_e32 v18, 0x997e0, v1
	s_and_b32 vcc_lo, s2, s1
	v_cndmask_b32_e64 v83, 0x7ff00000, v83, s1
	v_cndmask_b32_e32 v120, 0, v82, vcc_lo
	s_and_b32 vcc_lo, s4, s3
	v_ashrrev_i32_e32 v19, 31, v18
	v_cndmask_b32_e32 v116, 0, v98, vcc_lo
	v_cndmask_b32_e64 v121, 0, v83, s2
	v_fma_f64 v[131:132], v[96:97], v[114:115], s[34:35]
	v_add_co_u32 v112, s5, s22, v26
	v_lshlrev_b64 v[18:19], 3, v[18:19]
	v_add_nc_u32_e32 v26, 0x9b9fc, v1
	v_rndne_f64_e32 v[84:85], v[122:123]
	v_add_co_ci_u32_e64 v113, s5, s23, v27, s5
	v_add_nc_u32_e32 v98, 0x9fe34, v1
	v_fma_f64 v[106:107], v[94:95], v[52:53], s[40:41]
	v_add_co_u32 v52, vcc_lo, s24, v18
	v_add_co_ci_u32_e32 v53, vcc_lo, s25, v19, vcc_lo
	v_ashrrev_i32_e32 v27, 31, v26
	v_cndmask_b32_e64 v117, 0, v99, s4
	v_ashrrev_i32_e32 v99, 31, v98
	global_load_b64 v[82:83], v[52:53], off
	v_fma_f64 v[114:115], v[100:101], v[126:127], 1.0
	v_lshlrev_b64 v[52:53], 3, v[26:27]
	v_lshlrev_b64 v[26:27], 3, v[76:77]
	;; [unrolled: 1-line block ×3, first 2 shown]
	v_cndmask_b32_e64 v119, 0, v105, s0
	v_fma_f64 v[104:105], v[90:91], s[20:21], s[16:17]
	v_fma_f64 v[122:123], v[86:87], s[20:21], s[16:17]
	v_add_co_u32 v100, vcc_lo, s24, v52
	v_add_co_ci_u32_e32 v101, vcc_lo, s25, v53, vcc_lo
	v_add_co_u32 v98, vcc_lo, s24, v26
	v_add_co_ci_u32_e32 v99, vcc_lo, s25, v27, vcc_lo
	;; [unrolled: 2-line block ×3, first 2 shown]
	v_ldexp_f64 v[126:127], v[102:103], v133
	s_clause 0x2
	global_load_b64 v[102:103], v[100:101], off
	global_load_b64 v[98:99], v[98:99], off
	;; [unrolled: 1-line block ×3, first 2 shown]
	v_fma_f64 v[131:132], v[96:97], v[131:132], s[36:37]
	v_fma_f64 v[124:125], v[88:89], s[20:21], s[16:17]
	;; [unrolled: 1-line block ×3, first 2 shown]
	v_cvt_i32_f64_e32 v133, v[66:67]
	v_fma_f64 v[135:136], v[84:85], s[28:29], v[58:59]
	v_cmp_nlt_f64_e32 vcc_lo, 0x40900000, v[72:73]
	v_cmp_ngt_f64_e64 s0, 0xc090cc00, v[72:73]
	v_mul_f64 v[118:119], v[118:119], v[2:3]
	v_fma_f64 v[141:142], v[94:95], v[106:107], 1.0
	v_mul_f64 v[120:121], v[120:121], v[2:3]
	v_cmp_eq_u32_e64 s1, 55, v0
	v_mul_f64 v[116:117], v[116:117], v[2:3]
	v_cmp_ngt_f64_e64 s2, 0xc090cc00, v[70:71]
	v_cmp_nlt_f64_e64 s3, 0x40900000, v[74:75]
	v_cmp_ngt_f64_e64 s4, 0xc090cc00, v[74:75]
	v_cmp_eq_u32_e64 s5, 58, v0
	v_fma_f64 v[139:140], v[90:91], v[104:105], s[14:15]
	v_fma_f64 v[122:123], v[86:87], v[122:123], s[14:15]
	;; [unrolled: 1-line block ×5, first 2 shown]
	v_ldexp_f64 v[114:115], v[114:115], v133
	v_fma_f64 v[106:107], v[84:85], s[26:27], v[135:136]
	v_fma_f64 v[94:95], v[94:95], v[141:142], 1.0
	v_cvt_f32_f64_e32 v133, v[120:121]
	v_sub_f32_e32 v120, v134, v128
	v_fma_f64 v[135:136], v[90:91], v[139:140], s[10:11]
	v_fma_f64 v[122:123], v[86:87], v[122:123], s[10:11]
	v_cndmask_b32_e32 v139, 0x7ff00000, v127, vcc_lo
	v_cvt_i32_f64_e32 v127, v[80:81]
	s_and_b32 vcc_lo, s0, vcc_lo
	v_fma_f64 v[131:132], v[96:97], v[131:132], 1.0
	v_fma_f64 v[124:125], v[88:89], v[124:125], s[10:11]
	v_fma_f64 v[72:73], v[104:105], s[20:21], s[16:17]
	;; [unrolled: 1-line block ×5, first 2 shown]
	v_ldexp_f64 v[94:95], v[94:95], v127
	v_fma_f64 v[96:97], v[96:97], v[131:132], 1.0
	s_waitcnt vmcnt(6)
	v_mul_f64 v[131:132], v[54:55], s[38:39]
	v_fma_f64 v[124:125], v[88:89], v[124:125], s[12:13]
	v_fma_f64 v[72:73], v[104:105], v[72:73], s[14:15]
	;; [unrolled: 1-line block ×4, first 2 shown]
	v_rndne_f64_e32 v[66:67], v[131:132]
	v_fma_f64 v[131:132], v[90:91], v[135:136], s[18:19]
	v_fma_f64 v[124:125], v[88:89], v[124:125], s[18:19]
	;; [unrolled: 1-line block ×4, first 2 shown]
	v_cvt_f32_f64_e32 v138, v[118:119]
	v_cvt_i32_f64_e32 v137, v[92:93]
	v_sub_f32_e32 v118, v134, v129
	v_fma_f64 v[122:123], v[86:87], v[122:123], s[30:31]
	v_fma_f64 v[80:81], v[66:67], s[28:29], v[54:55]
	;; [unrolled: 1-line block ×3, first 2 shown]
	s_delay_alu instid0(VALU_DEP_4)
	v_cndmask_b32_e64 v131, -v129, v118, s1
	v_fma_f64 v[124:125], v[88:89], v[124:125], s[30:31]
	v_fma_f64 v[118:119], v[106:107], v[135:136], s[12:13]
	;; [unrolled: 1-line block ×3, first 2 shown]
	v_cvt_f64_f32_e32 v[129:130], v130
	v_cvt_f64_f32_e32 v[131:132], v131
	v_add_co_u32 v4, s1, s22, v4
	s_delay_alu instid0(VALU_DEP_1)
	v_add_co_ci_u32_e64 v5, s1, s23, v5, s1
	v_cmp_eq_u32_e64 s1, 56, v0
	v_cvt_f32_f64_e32 v136, v[116:117]
	s_clause 0x2
	global_store_b64 v[108:109], v[110:111], off
	global_store_b64 v[112:113], v[129:130], off
	;; [unrolled: 1-line block ×3, first 2 shown]
	v_cndmask_b32_e64 v127, -v128, v120, s1
	v_sub_f32_e32 v128, v134, v138
	v_cmp_eq_u32_e64 s1, 57, v0
	v_fma_f64 v[92:93], v[90:91], v[92:93], s[34:35]
	v_fma_f64 v[80:81], v[66:67], s[26:27], v[80:81]
	;; [unrolled: 1-line block ×4, first 2 shown]
	v_cndmask_b32_e64 v135, -v138, v128, s1
	v_cmp_nlt_f64_e64 s1, 0x40900000, v[70:71]
	s_waitcnt vmcnt(5)
	v_mul_f64 v[124:125], v[42:43], s[38:39]
	v_cvt_f64_f32_e32 v[127:128], v127
	v_fma_f64 v[116:117], v[106:107], v[118:119], s[18:19]
	v_fma_f64 v[72:73], v[104:105], v[72:73], s[18:19]
	v_cvt_f64_f32_e32 v[4:5], v135
	v_cndmask_b32_e32 v70, 0, v126, vcc_lo
	v_add_co_u32 v8, vcc_lo, s22, v8
	v_add_co_ci_u32_e32 v9, vcc_lo, s23, v9, vcc_lo
	v_cndmask_b32_e64 v71, 0, v139, s0
	v_cmp_nlt_f64_e32 vcc_lo, 0x40900000, v[60:61]
	v_cmp_ngt_f64_e64 s0, 0xc090cc00, v[60:61]
	v_ldexp_f64 v[96:97], v[96:97], v137
	v_sub_f32_e32 v110, v134, v133
	v_mul_f64 v[70:71], v[70:71], v[2:3]
	s_waitcnt vmcnt(4)
	v_mul_f64 v[112:113], v[44:45], s[38:39]
	v_fma_f64 v[92:93], v[90:91], v[92:93], s[36:37]
	v_fma_f64 v[108:109], v[80:81], s[20:21], s[16:17]
	;; [unrolled: 1-line block ×3, first 2 shown]
	v_cndmask_b32_e64 v129, 0x7ff00000, v115, s1
	v_cndmask_b32_e64 v115, -v133, v110, s5
	v_add_co_u32 v14, s5, s22, v14
	s_delay_alu instid0(VALU_DEP_1)
	v_add_co_ci_u32_e64 v15, s5, s23, v15, s5
	s_and_b32 s1, s2, s1
	v_fma_f64 v[110:111], v[88:89], v[122:123], s[36:37]
	v_rndne_f64_e32 v[60:61], v[124:125]
	v_cvt_f64_f32_e32 v[118:119], v115
	v_fma_f64 v[115:116], v[106:107], v[116:117], s[30:31]
	v_fma_f64 v[120:121], v[104:105], v[72:73], s[30:31]
	s_clause 0x1
	global_store_b64 v[8:9], v[127:128], off
	global_store_b64 v[14:15], v[4:5], off
	v_cndmask_b32_e64 v4, 0, v114, s1
	v_add_co_u32 v122, s5, s22, v16
	s_delay_alu instid0(VALU_DEP_1)
	v_add_co_ci_u32_e64 v123, s5, s23, v17, s5
	v_sub_f32_e32 v124, v134, v136
	v_cmp_eq_u32_e64 s5, 59, v0
	v_cndmask_b32_e64 v5, 0, v129, s2
	v_rndne_f64_e32 v[72:73], v[112:113]
	s_waitcnt vmcnt(3)
	v_mul_f64 v[113:114], v[82:83], s[38:39]
	v_add_nc_u32_e32 v14, 0xa6488, v1
	v_cndmask_b32_e64 v8, -v136, v124, s5
	v_mul_f64 v[128:129], v[4:5], v[2:3]
	v_add_nc_u32_e32 v4, 0xa2050, v1
	v_cndmask_b32_e32 v95, 0x7ff00000, v95, vcc_lo
	v_ashrrev_i32_e32 v15, 31, v14
	v_cvt_f64_f32_e32 v[126:127], v8
	v_add_nc_u32_e32 v8, 0xa426c, v1
	v_ashrrev_i32_e32 v5, 31, v4
	s_and_b32 vcc_lo, s0, vcc_lo
	v_lshlrev_b64 v[14:15], 3, v[14:15]
	v_cndmask_b32_e32 v94, 0, v94, vcc_lo
	v_ashrrev_i32_e32 v9, 31, v8
	v_lshlrev_b64 v[4:5], 3, v[4:5]
	s_and_b32 vcc_lo, s4, s3
	v_cndmask_b32_e64 v97, 0x7ff00000, v97, s3
	v_cndmask_b32_e32 v96, 0, v96, vcc_lo
	v_lshlrev_b64 v[8:9], 3, v[8:9]
	v_add_co_u32 v124, s1, s22, v36
	v_add_co_u32 v16, vcc_lo, s24, v4
	v_add_co_ci_u32_e32 v17, vcc_lo, s25, v5, vcc_lo
	v_cvt_f32_f64_e32 v143, v[70:71]
	v_fma_f64 v[92:93], v[90:91], v[92:93], s[40:41]
	v_add_co_u32 v36, vcc_lo, s24, v8
	v_add_co_ci_u32_e64 v125, s1, s23, v37, s1
	v_add_co_ci_u32_e32 v37, vcc_lo, s25, v9, vcc_lo
	v_cndmask_b32_e64 v95, 0, v95, s0
	v_cndmask_b32_e64 v97, 0, v97, s4
	v_add_co_u32 v132, vcc_lo, s24, v14
	v_add_co_ci_u32_e32 v133, vcc_lo, s25, v15, vcc_lo
	v_fma_f64 v[108:109], v[80:81], v[108:109], s[14:15]
	v_fma_f64 v[74:75], v[86:87], v[74:75], s[40:41]
	;; [unrolled: 1-line block ×6, first 2 shown]
	s_waitcnt vmcnt(2)
	v_mul_f64 v[135:136], v[102:103], s[38:39]
	s_waitcnt vmcnt(1)
	v_mul_f64 v[137:138], v[98:99], s[38:39]
	s_clause 0x2
	global_load_b64 v[70:71], v[16:17], off
	global_load_b64 v[36:37], v[36:37], off
	;; [unrolled: 1-line block ×3, first 2 shown]
	s_waitcnt vmcnt(3)
	v_mul_f64 v[132:133], v[100:101], s[38:39]
	v_mul_f64 v[139:140], v[94:95], v[2:3]
	s_clause 0x1
	global_store_b64 v[122:123], v[118:119], off
	global_store_b64 v[124:125], v[126:127], off
	v_mul_f64 v[122:123], v[96:97], v[2:3]
	v_rndne_f64_e32 v[94:95], v[113:114]
	v_fma_f64 v[117:118], v[72:73], s[28:29], v[44:45]
	v_cmp_eq_u32_e32 vcc_lo, 60, v0
	v_cvt_f32_f64_e32 v144, v[128:129]
	v_add_nc_u32_e32 v119, 0xa86a4, v1
	v_cmp_ngt_f64_e64 s0, 0xc090cc00, v[56:57]
	v_cmp_nlt_f64_e64 s3, 0x40900000, v[46:47]
	v_cmp_nlt_f64_e64 s1, 0x40900000, v[50:51]
	v_cmp_ngt_f64_e64 s2, 0xc090cc00, v[50:51]
	v_cmp_ngt_f64_e64 s4, 0xc090cc00, v[46:47]
	v_cmp_nlt_f64_e64 s5, 0x40900000, v[58:59]
	v_fma_f64 v[141:142], v[90:91], v[92:93], 1.0
	v_sub_f32_e32 v92, v134, v143
	v_cmp_nlt_f64_e64 s9, 0x40900000, v[100:101]
	s_delay_alu instid0(VALU_DEP_2)
	v_cndmask_b32_e64 v110, -v143, v92, vcc_lo
	v_add_co_u32 v128, vcc_lo, s22, v22
	v_add_co_ci_u32_e32 v129, vcc_lo, s23, v23, vcc_lo
	v_fma_f64 v[124:125], v[80:81], v[108:109], s[10:11]
	v_fma_f64 v[113:114], v[86:87], v[74:75], 1.0
	v_fma_f64 v[126:127], v[88:89], v[130:131], 1.0
	v_fma_f64 v[108:109], v[60:61], s[26:27], v[111:112]
	v_fma_f64 v[111:112], v[106:107], v[115:116], s[36:37]
	;; [unrolled: 1-line block ×3, first 2 shown]
	v_rndne_f64_e32 v[92:93], v[135:136]
	v_rndne_f64_e32 v[74:75], v[137:138]
	v_add_co_u32 v130, vcc_lo, s22, v32
	v_rndne_f64_e32 v[96:97], v[132:133]
	v_add_nc_u32_e32 v32, 0xaa8c0, v1
	v_ashrrev_i32_e32 v120, 31, v119
	v_cvt_f32_f64_e32 v1, v[122:123]
	v_fma_f64 v[121:122], v[94:95], s[28:29], v[82:83]
	v_fma_f64 v[117:118], v[72:73], s[26:27], v[117:118]
	v_add_co_ci_u32_e32 v131, vcc_lo, s23, v33, vcc_lo
	v_lshlrev_b64 v[22:23], 3, v[119:120]
	v_ashrrev_i32_e32 v33, 31, v32
	v_cvt_i32_f64_e32 v138, v[68:69]
	v_cvt_f32_f64_e32 v137, v[139:140]
	v_cvt_i32_f64_e32 v139, v[62:63]
	v_cvt_i32_f64_e32 v140, v[64:65]
	v_add_co_u32 v68, vcc_lo, s24, v22
	v_lshlrev_b64 v[32:33], 3, v[32:33]
	v_add_co_ci_u32_e32 v69, vcc_lo, s25, v23, vcc_lo
	v_add_co_u32 v119, vcc_lo, s22, v20
	v_add_co_ci_u32_e32 v120, vcc_lo, s23, v21, vcc_lo
	global_load_b64 v[20:21], v[68:69], off
	v_add_co_u32 v68, vcc_lo, s24, v32
	v_add_co_ci_u32_e32 v69, vcc_lo, s25, v33, vcc_lo
	v_fma_f64 v[64:65], v[80:81], v[124:125], s[12:13]
	v_fma_f64 v[86:87], v[86:87], v[113:114], 1.0
	v_fma_f64 v[88:89], v[88:89], v[126:127], 1.0
	global_load_b64 v[68:69], v[68:69], off
	v_fma_f64 v[113:114], v[108:109], s[20:21], s[16:17]
	v_fma_f64 v[111:112], v[106:107], v[111:112], s[40:41]
	v_fma_f64 v[126:127], v[92:93], s[28:29], v[102:103]
	v_fma_f64 v[132:133], v[74:75], s[28:29], v[98:99]
	v_fma_f64 v[115:116], v[104:105], v[115:116], s[40:41]
	v_fma_f64 v[90:91], v[90:91], v[141:142], 1.0
	v_fma_f64 v[135:136], v[96:97], s[28:29], v[100:101]
	v_cmp_eq_u32_e32 vcc_lo, 61, v0
	v_fma_f64 v[121:122], v[94:95], s[26:27], v[121:122]
	v_fma_f64 v[62:63], v[117:118], s[20:21], s[16:17]
	;; [unrolled: 1-line block ×3, first 2 shown]
	v_ldexp_f64 v[86:87], v[86:87], v139
	v_sub_f32_e32 v139, v134, v144
	v_ldexp_f64 v[88:89], v[88:89], v140
	v_fma_f64 v[113:114], v[108:109], v[113:114], s[14:15]
	v_fma_f64 v[111:112], v[106:107], v[111:112], 1.0
	v_fma_f64 v[123:124], v[92:93], s[26:27], v[126:127]
	v_fma_f64 v[125:126], v[74:75], s[26:27], v[132:133]
	v_fma_f64 v[115:116], v[104:105], v[115:116], 1.0
	v_cvt_i32_f64_e32 v127, v[84:85]
	v_fma_f64 v[132:133], v[96:97], s[26:27], v[135:136]
	v_ldexp_f64 v[90:91], v[90:91], v138
	v_cvt_i32_f64_e32 v138, v[78:79]
	v_fma_f64 v[135:136], v[121:122], s[20:21], s[16:17]
	v_fma_f64 v[62:63], v[117:118], v[62:63], s[14:15]
	v_fma_f64 v[64:65], v[80:81], v[64:65], s[30:31]
	v_cndmask_b32_e64 v87, 0x7ff00000, v87, s1
	v_fma_f64 v[113:114], v[108:109], v[113:114], s[10:11]
	v_fma_f64 v[106:107], v[106:107], v[111:112], 1.0
	s_delay_alu instid0(VALU_DEP_3)
	v_cndmask_b32_e64 v87, 0, v87, s2
	v_fma_f64 v[111:112], v[125:126], s[20:21], s[16:17]
	v_fma_f64 v[84:85], v[104:105], v[115:116], 1.0
	v_fma_f64 v[104:105], v[123:124], s[20:21], s[16:17]
	v_fma_f64 v[115:116], v[132:133], s[20:21], s[16:17]
	v_fma_f64 v[135:136], v[121:122], v[135:136], s[14:15]
	v_fma_f64 v[62:63], v[117:118], v[62:63], s[10:11]
	v_fma_f64 v[64:65], v[80:81], v[64:65], s[34:35]
	v_fma_f64 v[113:114], v[108:109], v[113:114], s[12:13]
	v_ldexp_f64 v[78:79], v[106:107], v127
	v_sub_f32_e32 v106, v134, v137
	v_fma_f64 v[111:112], v[125:126], v[111:112], s[14:15]
	v_cndmask_b32_e64 v127, -v144, v139, vcc_lo
	v_fma_f64 v[104:105], v[123:124], v[104:105], s[14:15]
	v_fma_f64 v[115:116], v[132:133], v[115:116], s[14:15]
	v_cmp_eq_u32_e32 vcc_lo, 62, v0
	v_sub_f32_e32 v107, v134, v1
	v_cvt_i32_f64_e32 v139, v[66:67]
	v_fma_f64 v[135:136], v[121:122], v[135:136], s[10:11]
	v_fma_f64 v[62:63], v[117:118], v[62:63], s[12:13]
	v_cndmask_b32_e64 v137, -v137, v106, vcc_lo
	v_cmp_eq_u32_e32 vcc_lo, 63, v0
	v_ldexp_f64 v[84:85], v[84:85], v138
	v_cndmask_b32_e64 v1, -v1, v107, vcc_lo
	v_add_co_u32 v24, vcc_lo, s22, v24
	v_add_co_ci_u32_e32 v25, vcc_lo, s23, v25, vcc_lo
	v_cmp_nlt_f64_e32 vcc_lo, 0x40900000, v[56:57]
	v_fma_f64 v[64:65], v[80:81], v[64:65], s[36:37]
	v_fma_f64 v[113:114], v[108:109], v[113:114], s[18:19]
	v_cndmask_b32_e64 v138, 0x7ff00000, v79, s5
	v_fma_f64 v[111:112], v[125:126], v[111:112], s[10:11]
	v_fma_f64 v[104:105], v[123:124], v[104:105], s[10:11]
	;; [unrolled: 1-line block ×5, first 2 shown]
	v_cndmask_b32_e32 v91, 0x7ff00000, v91, vcc_lo
	s_and_b32 vcc_lo, s0, vcc_lo
	v_cndmask_b32_e32 v48, 0, v90, vcc_lo
	s_and_b32 vcc_lo, s2, s1
	s_delay_alu instid0(VALU_DEP_2)
	v_cndmask_b32_e64 v49, 0, v91, s0
	v_cndmask_b32_e32 v86, 0, v86, vcc_lo
	s_and_b32 vcc_lo, s4, s3
	v_cmp_ngt_f64_e64 s0, 0xc090cc00, v[54:55]
	v_cmp_nlt_f64_e64 s1, 0x40900000, v[44:45]
	v_mul_f64 v[48:49], v[48:49], v[2:3]
	v_fma_f64 v[64:65], v[80:81], v[64:65], s[40:41]
	v_cmp_ngt_f64_e64 s2, 0xc090cc00, v[44:45]
	v_fma_f64 v[113:114], v[108:109], v[113:114], s[30:31]
	v_fma_f64 v[111:112], v[125:126], v[111:112], s[12:13]
	;; [unrolled: 1-line block ×6, first 2 shown]
	v_fma_f64 v[64:65], v[80:81], v[64:65], 1.0
	v_fma_f64 v[113:114], v[108:109], v[113:114], s[34:35]
	v_fma_f64 v[111:112], v[125:126], v[111:112], s[18:19]
	v_fma_f64 v[104:105], v[123:124], v[104:105], s[18:19]
	v_fma_f64 v[115:116], v[132:133], v[115:116], s[18:19]
	v_fma_f64 v[135:136], v[121:122], v[135:136], s[30:31]
	v_fma_f64 v[62:63], v[117:118], v[62:63], s[34:35]
	s_waitcnt vmcnt(4)
	v_mul_f64 v[66:67], v[70:71], s[38:39]
	s_waitcnt vmcnt(3)
	v_mul_f64 v[106:107], v[36:37], s[38:39]
	v_fma_f64 v[64:65], v[80:81], v[64:65], 1.0
	v_fma_f64 v[113:114], v[108:109], v[113:114], s[36:37]
	v_fma_f64 v[111:112], v[125:126], v[111:112], s[30:31]
	;; [unrolled: 1-line block ×6, first 2 shown]
	v_cndmask_b32_e64 v135, 0x7ff00000, v89, s3
	v_cmp_nlt_f64_e64 s3, 0x40900000, v[82:83]
	v_rndne_f64_e32 v[66:67], v[66:67]
	v_rndne_f64_e32 v[106:107], v[106:107]
	v_ldexp_f64 v[64:65], v[64:65], v139
	v_cvt_i32_f64_e32 v139, v[60:61]
	v_fma_f64 v[50:51], v[108:109], v[113:114], s[40:41]
	v_fma_f64 v[80:81], v[125:126], v[111:112], s[34:35]
	s_waitcnt vmcnt(2)
	v_mul_f64 v[111:112], v[16:17], s[38:39]
	v_fma_f64 v[46:47], v[123:124], v[104:105], s[34:35]
	v_fma_f64 v[104:105], v[132:133], v[115:116], s[34:35]
	s_waitcnt vmcnt(1)
	v_mul_f64 v[113:114], v[20:21], s[38:39]
	v_cndmask_b32_e32 v115, 0, v88, vcc_lo
	v_cndmask_b32_e64 v116, 0, v135, s4
	v_fma_f64 v[56:57], v[121:122], v[56:57], s[36:37]
	v_fma_f64 v[62:63], v[117:118], v[62:63], s[40:41]
	v_cmp_nlt_f64_e32 vcc_lo, 0x40900000, v[54:55]
	v_cmp_ngt_f64_e64 s4, 0xc090cc00, v[82:83]
	v_mul_f64 v[115:116], v[115:116], v[2:3]
	s_waitcnt vmcnt(0)
	v_mul_f64 v[58:59], v[68:69], s[38:39]
	v_fma_f64 v[89:90], v[66:67], s[28:29], v[70:71]
	v_fma_f64 v[50:51], v[108:109], v[50:51], 1.0
	v_fma_f64 v[79:80], v[125:126], v[80:81], s[36:37]
	v_rndne_f64_e32 v[111:112], v[111:112]
	v_fma_f64 v[46:47], v[123:124], v[46:47], s[36:37]
	v_fma_f64 v[104:105], v[132:133], v[104:105], s[36:37]
	v_rndne_f64_e32 v[113:114], v[113:114]
	v_cndmask_b32_e64 v81, 0x7ff00000, v85, s7
	v_mul_f64 v[85:86], v[86:87], v[2:3]
	v_fma_f64 v[56:57], v[121:122], v[56:57], s[40:41]
	v_fma_f64 v[62:63], v[117:118], v[62:63], 1.0
	v_cvt_i32_f64_e32 v87, v[92:93]
	v_cvt_f64_f32_e32 v[92:93], v137
	v_cndmask_b32_e32 v65, 0x7ff00000, v65, vcc_lo
	v_rndne_f64_e32 v[58:59], v[58:59]
	s_and_b32 vcc_lo, s0, vcc_lo
	v_fma_f64 v[88:89], v[66:67], s[26:27], v[89:90]
	s_delay_alu instid0(VALU_DEP_3)
	v_cndmask_b32_e64 v65, 0, v65, s0
	v_cndmask_b32_e32 v64, 0, v64, vcc_lo
	v_add_co_u32 v30, vcc_lo, s22, v30
	v_add_co_ci_u32_e32 v31, vcc_lo, s23, v31, vcc_lo
	s_and_b32 vcc_lo, s6, s5
	v_cmp_ngt_f64_e64 s0, 0xc090cc00, v[42:43]
	v_cmp_eq_u32_e64 s5, 64, v0
	v_fma_f64 v[50:51], v[108:109], v[50:51], 1.0
	v_fma_f64 v[60:61], v[125:126], v[79:80], s[40:41]
	v_fma_f64 v[108:109], v[111:112], s[28:29], v[16:17]
	;; [unrolled: 1-line block ×6, first 2 shown]
	v_cvt_f32_f64_e32 v85, v[85:86]
	v_fma_f64 v[56:57], v[121:122], v[56:57], 1.0
	v_fma_f64 v[62:63], v[117:118], v[62:63], 1.0
	v_cvt_f32_f64_e32 v86, v[115:116]
	v_fma_f64 v[117:118], v[58:59], s[28:29], v[68:69]
	v_ldexp_f64 v[50:51], v[50:51], v139
	v_fma_f64 v[60:61], v[125:126], v[60:61], 1.0
	v_fma_f64 v[46:47], v[123:124], v[46:47], 1.0
	;; [unrolled: 1-line block ×3, first 2 shown]
	v_fma_f64 v[90:91], v[106:107], s[26:27], v[104:105]
	v_fma_f64 v[104:105], v[111:112], s[26:27], v[108:109]
	;; [unrolled: 1-line block ×3, first 2 shown]
	v_fma_f64 v[56:57], v[121:122], v[56:57], 1.0
	v_fma_f64 v[121:122], v[88:89], s[20:21], s[16:17]
	v_cvt_i32_f64_e32 v135, v[72:73]
	v_cvt_i32_f64_e32 v136, v[94:95]
	v_cvt_f64_f32_e32 v[94:95], v110
	v_fma_f64 v[117:118], v[58:59], s[26:27], v[117:118]
	v_cvt_i32_f64_e32 v110, v[74:75]
	v_cvt_f64_f32_e32 v[74:75], v1
	v_cvt_i32_f64_e32 v1, v[96:97]
	v_fma_f64 v[60:61], v[125:126], v[60:61], 1.0
	v_fma_f64 v[46:47], v[123:124], v[46:47], 1.0
	;; [unrolled: 1-line block ×3, first 2 shown]
	v_fma_f64 v[123:124], v[90:91], s[20:21], s[16:17]
	v_fma_f64 v[125:126], v[104:105], s[20:21], s[16:17]
	;; [unrolled: 1-line block ×4, first 2 shown]
	v_ldexp_f64 v[62:63], v[62:63], v135
	v_ldexp_f64 v[56:57], v[56:57], v136
	v_fma_f64 v[54:55], v[117:118], s[20:21], s[16:17]
	v_ldexp_f64 v[60:61], v[60:61], v110
	v_ldexp_f64 v[46:47], v[46:47], v87
	v_fma_f64 v[121:122], v[90:91], v[123:124], s[14:15]
	v_fma_f64 v[123:124], v[104:105], v[125:126], s[14:15]
	;; [unrolled: 1-line block ×3, first 2 shown]
	v_cvt_f64_f32_e32 v[132:133], v127
	v_fma_f64 v[72:73], v[88:89], v[72:73], s[10:11]
	s_clause 0x3
	global_store_b64 v[128:129], v[94:95], off
	global_store_b64 v[130:131], v[132:133], off
	;; [unrolled: 1-line block ×4, first 2 shown]
	v_fma_f64 v[54:55], v[117:118], v[54:55], s[14:15]
	v_fma_f64 v[72:73], v[88:89], v[72:73], s[12:13]
	;; [unrolled: 1-line block ×5, first 2 shown]
	v_cndmask_b32_e32 v74, 0, v78, vcc_lo
	s_and_b32 vcc_lo, s8, s7
	v_cvt_i32_f64_e32 v93, v[58:59]
	v_cndmask_b32_e32 v58, 0, v84, vcc_lo
	v_cmp_nlt_f64_e32 vcc_lo, 0x40900000, v[42:43]
	v_cndmask_b32_e64 v84, 0x7ff00000, v57, s3
	v_cndmask_b32_e64 v75, 0, v138, s6
	v_ldexp_f64 v[42:43], v[79:80], v1
	v_cndmask_b32_e64 v1, 0x7ff00000, v63, s1
	v_sub_f32_e32 v63, v134, v85
	v_cvt_i32_f64_e32 v92, v[113:114]
	v_cmp_nlt_f64_e64 s7, 0x40900000, v[98:99]
	v_cmp_ngt_f64_e64 s6, 0xc090cc00, v[102:103]
	v_cndmask_b32_e64 v59, 0, v81, s8
	v_cmp_ngt_f64_e64 s8, 0xc090cc00, v[98:99]
	v_cndmask_b32_e64 v81, 0, v1, s2
	v_cmp_ngt_f64_e64 s14, 0xc090cc00, v[68:69]
	v_cmp_eq_u32_e64 s15, 0x43, v0
	v_fma_f64 v[54:55], v[117:118], v[54:55], s[10:11]
	v_fma_f64 v[72:73], v[88:89], v[72:73], s[18:19]
	;; [unrolled: 1-line block ×5, first 2 shown]
	v_cmp_ngt_f64_e64 s10, 0xc090cc00, v[100:101]
	v_cmp_nlt_f64_e64 s11, 0x40900000, v[20:21]
	v_cndmask_b32_e32 v51, 0x7ff00000, v51, vcc_lo
	s_and_b32 vcc_lo, s0, vcc_lo
	v_cndmask_b32_e32 v50, 0, v50, vcc_lo
	s_and_b32 vcc_lo, s2, s1
	s_delay_alu instid0(VALU_DEP_2)
	v_cndmask_b32_e64 v51, 0, v51, s0
	v_cndmask_b32_e32 v80, 0, v62, vcc_lo
	v_cmp_nlt_f64_e32 vcc_lo, 0x40900000, v[70:71]
	v_cmp_ngt_f64_e64 s0, 0xc090cc00, v[70:71]
	s_and_b32 s1, s4, s3
	v_cmp_nlt_f64_e64 s3, 0x40900000, v[16:17]
	v_cmp_ngt_f64_e64 s2, 0xc090cc00, v[36:37]
	v_cndmask_b32_e64 v62, 0, v84, s4
	v_cmp_ngt_f64_e64 s4, 0xc090cc00, v[16:17]
	v_cndmask_b32_e64 v43, 0x7ff00000, v43, s9
	v_fma_f64 v[54:55], v[117:118], v[54:55], s[12:13]
	v_fma_f64 v[72:73], v[88:89], v[72:73], s[30:31]
	;; [unrolled: 1-line block ×5, first 2 shown]
	v_cmp_nlt_f64_e64 s13, 0x40900000, v[68:69]
	v_cmp_ngt_f64_e64 s12, 0xc090cc00, v[20:21]
	v_cndmask_b32_e64 v43, 0, v43, s10
	v_fma_f64 v[54:55], v[117:118], v[54:55], s[18:19]
	v_fma_f64 v[72:73], v[88:89], v[72:73], s[34:35]
	;; [unrolled: 1-line block ×16, first 2 shown]
	v_fma_f64 v[72:73], v[88:89], v[72:73], 1.0
	v_fma_f64 v[121:122], v[90:91], v[121:122], s[40:41]
	v_fma_f64 v[123:124], v[104:105], v[123:124], s[40:41]
	;; [unrolled: 1-line block ×4, first 2 shown]
	v_fma_f64 v[72:73], v[88:89], v[72:73], 1.0
	v_cvt_f32_f64_e32 v88, v[48:49]
	v_cvt_i32_f64_e32 v89, v[66:67]
	v_mul_f64 v[48:49], v[64:65], v[2:3]
	v_fma_f64 v[121:122], v[90:91], v[121:122], 1.0
	v_fma_f64 v[123:124], v[104:105], v[123:124], 1.0
	;; [unrolled: 1-line block ×4, first 2 shown]
	v_sub_f32_e32 v57, v134, v88
	v_ldexp_f64 v[44:45], v[72:73], v89
	v_sub_f32_e32 v72, v134, v86
	v_cvt_f32_f64_e32 v82, v[48:49]
	v_mul_f64 v[48:49], v[74:75], v[2:3]
	v_cndmask_b32_e64 v57, -v88, v57, s5
	v_cmp_eq_u32_e64 s5, 0x41, v0
	v_fma_f64 v[24:25], v[90:91], v[121:122], 1.0
	v_fma_f64 v[64:65], v[104:105], v[123:124], 1.0
	;; [unrolled: 1-line block ×3, first 2 shown]
	v_cvt_i32_f64_e32 v91, v[111:112]
	v_cndmask_b32_e64 v74, -v85, v63, s5
	v_cmp_eq_u32_e64 s5, 0x42, v0
	v_cvt_i32_f64_e32 v90, v[106:107]
	s_delay_alu instid0(VALU_DEP_3) | instskip(NEXT) | instid1(VALU_DEP_3)
	v_cvt_f64_f32_e32 v[74:75], v74
	v_cndmask_b32_e64 v78, -v86, v72, s5
	v_add_co_u32 v28, s5, s22, v28
	s_delay_alu instid0(VALU_DEP_1)
	v_add_co_ci_u32_e64 v29, s5, s23, v29, s5
	v_cmp_nlt_f64_e64 s5, 0x40900000, v[102:103]
	v_cvt_f64_f32_e32 v[72:73], v57
	v_mul_f64 v[57:58], v[58:59], v[2:3]
	v_cvt_f64_f32_e32 v[78:79], v78
	v_fma_f64 v[54:55], v[117:118], v[54:55], 1.0
	v_cndmask_b32_e32 v1, 0x7ff00000, v45, vcc_lo
	s_and_b32 vcc_lo, s0, vcc_lo
	v_sub_f32_e32 v45, v134, v82
	v_cvt_f32_f64_e32 v70, v[48:49]
	s_delay_alu instid0(VALU_DEP_2)
	v_cndmask_b32_e64 v45, -v82, v45, s15
	v_ldexp_f64 v[63:64], v[64:65], v91
	v_ldexp_f64 v[65:66], v[66:67], v92
	v_cndmask_b32_e64 v67, 0x7ff00000, v61, s7
	v_cndmask_b32_e64 v61, 0, v56, s1
	v_cmp_nlt_f64_e64 s1, 0x40900000, v[36:37]
	v_ldexp_f64 v[24:25], v[24:25], v90
	v_cndmask_b32_e64 v56, 0, v1, s0
	v_cndmask_b32_e64 v37, 0, v67, s8
	v_mul_f64 v[16:17], v[61:62], v[2:3]
	v_cndmask_b32_e64 v59, 0x7ff00000, v47, s5
	v_mul_f64 v[47:48], v[50:51], v[2:3]
	v_mul_f64 v[49:50], v[80:81], v[2:3]
	s_and_b32 s5, s6, s5
	s_delay_alu instid0(VALU_DEP_3)
	v_cndmask_b32_e64 v21, 0, v59, s6
	v_cndmask_b32_e64 v20, 0, v46, s5
	s_and_b32 s5, s8, s7
	v_cvt_f64_f32_e32 v[45:46], v45
	v_cndmask_b32_e64 v36, 0, v60, s5
	s_and_b32 s5, s10, s9
	v_mul_f64 v[20:21], v[20:21], v[2:3]
	v_cndmask_b32_e64 v42, 0, v42, s5
	v_cvt_f32_f64_e32 v59, v[57:58]
	v_ldexp_f64 v[54:55], v[54:55], v93
	v_mul_f64 v[36:37], v[36:37], v[2:3]
	s_delay_alu instid0(VALU_DEP_4) | instskip(SKIP_4) | instid1(VALU_DEP_1)
	v_mul_f64 v[42:43], v[42:43], v[2:3]
	v_sub_f32_e32 v60, v134, v70
	v_cndmask_b32_e64 v51, 0x7ff00000, v64, s3
	v_cndmask_b32_e64 v64, 0x7ff00000, v66, s11
	;; [unrolled: 1-line block ×4, first 2 shown]
	v_cvt_f32_f64_e32 v61, v[49:50]
	v_cndmask_b32_e64 v50, 0, v51, s4
	v_cvt_f32_f64_e32 v51, v[16:17]
	v_cndmask_b32_e64 v66, 0x7ff00000, v55, s13
	v_cndmask_b32_e32 v55, 0, v44, vcc_lo
	v_add_co_u32 v12, vcc_lo, s22, v12
	v_add_co_ci_u32_e32 v13, vcc_lo, s23, v13, vcc_lo
	v_cvt_f32_f64_e32 v44, v[47:48]
	s_and_b32 vcc_lo, s2, s1
	v_mul_f64 v[47:48], v[55:56], v[2:3]
	v_cndmask_b32_e32 v24, 0, v24, vcc_lo
	s_and_b32 vcc_lo, s4, s3
	v_cndmask_b32_e64 v56, 0, v64, s12
	v_cndmask_b32_e32 v49, 0, v63, vcc_lo
	s_and_b32 vcc_lo, s12, s11
	v_cndmask_b32_e64 v58, 0, v66, s14
	v_cndmask_b32_e32 v55, 0, v65, vcc_lo
	s_and_b32 vcc_lo, s14, s13
	v_mul_f64 v[16:17], v[24:25], v[2:3]
	v_cndmask_b32_e32 v57, 0, v54, vcc_lo
	v_mul_f64 v[24:25], v[49:50], v[2:3]
	v_mul_f64 v[49:50], v[55:56], v[2:3]
	v_add_co_u32 v40, vcc_lo, s22, v40
	s_delay_alu instid0(VALU_DEP_4)
	v_mul_f64 v[1:2], v[57:58], v[2:3]
	v_add_co_ci_u32_e32 v41, vcc_lo, s23, v41, vcc_lo
	v_cmp_eq_u32_e32 vcc_lo, 0x44, v0
	s_clause 0x3
	global_store_b64 v[30:31], v[72:73], off
	global_store_b64 v[28:29], v[74:75], off
	;; [unrolled: 1-line block ×4, first 2 shown]
	v_cvt_f32_f64_e32 v40, v[20:21]
	v_cvt_f32_f64_e32 v36, v[36:37]
	;; [unrolled: 1-line block ×3, first 2 shown]
	v_cndmask_b32_e64 v3, -v70, v60, vcc_lo
	v_cmp_eq_u32_e32 vcc_lo, 0x45, v0
	s_delay_alu instid0(VALU_DEP_2) | instskip(SKIP_1) | instid1(VALU_DEP_1)
	v_cvt_f64_f32_e32 v[12:13], v3
	v_sub_f32_e32 v3, v134, v59
	v_cndmask_b32_e64 v3, -v59, v3, vcc_lo
	v_add_co_u32 v20, vcc_lo, s22, v38
	v_add_co_ci_u32_e32 v21, vcc_lo, s23, v39, vcc_lo
	v_sub_f32_e32 v30, v134, v44
	v_cmp_eq_u32_e32 vcc_lo, 0x46, v0
	v_cvt_f64_f32_e32 v[28:29], v3
	v_cvt_f32_f64_e32 v42, v[47:48]
	v_sub_f32_e32 v38, v134, v61
	v_cndmask_b32_e64 v3, -v44, v30, vcc_lo
	v_add_co_u32 v30, vcc_lo, s22, v34
	v_add_co_ci_u32_e32 v31, vcc_lo, s23, v35, vcc_lo
	v_cmp_eq_u32_e32 vcc_lo, 0x47, v0
	v_cvt_f32_f64_e32 v43, v[16:17]
	v_cvt_f64_f32_e32 v[34:35], v3
	v_cvt_f32_f64_e32 v46, v[1:2]
	v_sub_f32_e32 v16, v134, v51
	v_cndmask_b32_e64 v3, -v61, v38, vcc_lo
	v_add_co_u32 v1, vcc_lo, s22, v6
	v_add_co_ci_u32_e32 v2, vcc_lo, s23, v7, vcc_lo
	v_cmp_eq_u32_e32 vcc_lo, 0x48, v0
	v_cvt_f32_f64_e32 v44, v[24:25]
	v_cvt_f64_f32_e32 v[6:7], v3
	v_cvt_f32_f64_e32 v45, v[49:50]
	v_sub_f32_e32 v24, v134, v40
	v_cndmask_b32_e64 v3, -v51, v16, vcc_lo
	v_add_co_u32 v10, vcc_lo, s22, v10
	v_add_co_ci_u32_e32 v11, vcc_lo, s23, v11, vcc_lo
	v_cmp_eq_u32_e32 vcc_lo, 0x49, v0
	s_delay_alu instid0(VALU_DEP_4) | instskip(SKIP_4) | instid1(VALU_DEP_4)
	v_cvt_f64_f32_e32 v[16:17], v3
	v_sub_f32_e32 v3, v134, v36
	v_sub_f32_e32 v25, v134, v37
	v_cndmask_b32_e64 v24, -v40, v24, vcc_lo
	v_cmp_eq_u32_e32 vcc_lo, 0x4a, v0
	v_cndmask_b32_e64 v3, -v36, v3, vcc_lo
	v_cmp_eq_u32_e32 vcc_lo, 0x4b, v0
	v_cndmask_b32_e64 v38, -v37, v25, vcc_lo
	v_add_co_u32 v18, vcc_lo, s22, v18
	v_add_co_ci_u32_e32 v19, vcc_lo, s23, v19, vcc_lo
	v_add_co_u32 v40, vcc_lo, s22, v52
	v_add_co_ci_u32_e32 v41, vcc_lo, s23, v53, vcc_lo
	v_cvt_f64_f32_e32 v[36:37], v3
	v_sub_f32_e32 v3, v134, v42
	v_cmp_eq_u32_e32 vcc_lo, 0x4c, v0
	v_sub_f32_e32 v47, v134, v43
	v_cvt_f64_f32_e32 v[24:25], v24
	v_cvt_f64_f32_e32 v[38:39], v38
	v_sub_f32_e32 v48, v134, v46
	v_cndmask_b32_e64 v3, -v42, v3, vcc_lo
	v_cmp_eq_u32_e32 vcc_lo, 0x4d, v0
	v_sub_f32_e32 v42, v134, v44
	v_cndmask_b32_e64 v47, -v43, v47, vcc_lo
	v_cmp_eq_u32_e32 vcc_lo, 0x4e, v0
	v_sub_f32_e32 v43, v134, v45
	s_delay_alu instid0(VALU_DEP_4) | instskip(SKIP_1) | instid1(VALU_DEP_3)
	v_cndmask_b32_e64 v49, -v44, v42, vcc_lo
	v_cmp_eq_u32_e32 vcc_lo, 0x4f, v0
	v_cndmask_b32_e64 v50, -v45, v43, vcc_lo
	v_cmp_eq_u32_e32 vcc_lo, 0x50, v0
	v_cvt_f64_f32_e32 v[42:43], v3
	v_cvt_f64_f32_e32 v[44:45], v47
	v_cndmask_b32_e64 v0, -v46, v48, vcc_lo
	v_cvt_f64_f32_e32 v[46:47], v49
	v_cvt_f64_f32_e32 v[48:49], v50
	v_add_co_u32 v26, vcc_lo, s22, v26
	s_delay_alu instid0(VALU_DEP_4)
	v_cvt_f64_f32_e32 v[50:51], v0
	v_add_co_ci_u32_e32 v27, vcc_lo, s23, v27, vcc_lo
	v_add_co_u32 v52, vcc_lo, s22, v76
	v_add_co_ci_u32_e32 v53, vcc_lo, s23, v77, vcc_lo
	v_add_co_u32 v0, vcc_lo, s22, v4
	s_clause 0x7
	global_store_b64 v[20:21], v[12:13], off
	global_store_b64 v[30:31], v[28:29], off
	;; [unrolled: 1-line block ×8, first 2 shown]
	v_add_co_ci_u32_e32 v1, vcc_lo, s23, v5, vcc_lo
	v_add_co_u32 v2, vcc_lo, s22, v8
	v_add_co_ci_u32_e32 v3, vcc_lo, s23, v9, vcc_lo
	v_add_co_u32 v4, vcc_lo, s22, v14
	;; [unrolled: 2-line block ×4, first 2 shown]
	v_add_co_ci_u32_e32 v9, vcc_lo, s23, v33, vcc_lo
	s_clause 0x4
	global_store_b64 v[0:1], v[42:43], off
	global_store_b64 v[2:3], v[44:45], off
	;; [unrolled: 1-line block ×5, first 2 shown]
.LBB2_4:
	s_nop 0
	s_sendmsg sendmsg(MSG_DEALLOC_VGPRS)
	s_endpgm
	.section	.rodata,"a",@progbits
	.p2align	6, 0x0
	.amdhsa_kernel _Z8loss_bwdIddEvPKT_PKT0_S5_PKlS2_S7_PS3_
		.amdhsa_group_segment_fixed_size 0
		.amdhsa_private_segment_fixed_size 0
		.amdhsa_kernarg_size 56
		.amdhsa_user_sgpr_count 14
		.amdhsa_user_sgpr_dispatch_ptr 0
		.amdhsa_user_sgpr_queue_ptr 0
		.amdhsa_user_sgpr_kernarg_segment_ptr 1
		.amdhsa_user_sgpr_dispatch_id 0
		.amdhsa_user_sgpr_private_segment_size 0
		.amdhsa_wavefront_size32 1
		.amdhsa_uses_dynamic_stack 0
		.amdhsa_enable_private_segment 0
		.amdhsa_system_sgpr_workgroup_id_x 1
		.amdhsa_system_sgpr_workgroup_id_y 1
		.amdhsa_system_sgpr_workgroup_id_z 0
		.amdhsa_system_sgpr_workgroup_info 0
		.amdhsa_system_vgpr_workitem_id 0
		.amdhsa_next_free_vgpr 150
		.amdhsa_next_free_sgpr 42
		.amdhsa_reserve_vcc 1
		.amdhsa_float_round_mode_32 0
		.amdhsa_float_round_mode_16_64 0
		.amdhsa_float_denorm_mode_32 3
		.amdhsa_float_denorm_mode_16_64 3
		.amdhsa_dx10_clamp 1
		.amdhsa_ieee_mode 1
		.amdhsa_fp16_overflow 0
		.amdhsa_workgroup_processor_mode 1
		.amdhsa_memory_ordered 1
		.amdhsa_forward_progress 0
		.amdhsa_shared_vgpr_count 0
		.amdhsa_exception_fp_ieee_invalid_op 0
		.amdhsa_exception_fp_denorm_src 0
		.amdhsa_exception_fp_ieee_div_zero 0
		.amdhsa_exception_fp_ieee_overflow 0
		.amdhsa_exception_fp_ieee_underflow 0
		.amdhsa_exception_fp_ieee_inexact 0
		.amdhsa_exception_int_div_zero 0
	.end_amdhsa_kernel
	.section	.text._Z8loss_bwdIddEvPKT_PKT0_S5_PKlS2_S7_PS3_,"axG",@progbits,_Z8loss_bwdIddEvPKT_PKT0_S5_PKlS2_S7_PS3_,comdat
.Lfunc_end2:
	.size	_Z8loss_bwdIddEvPKT_PKT0_S5_PKlS2_S7_PS3_, .Lfunc_end2-_Z8loss_bwdIddEvPKT_PKT0_S5_PKlS2_S7_PS3_
                                        ; -- End function
	.section	.AMDGPU.csdata,"",@progbits
; Kernel info:
; codeLenInByte = 23724
; NumSgprs: 44
; NumVgprs: 150
; ScratchSize: 0
; MemoryBound: 0
; FloatMode: 240
; IeeeMode: 1
; LDSByteSize: 0 bytes/workgroup (compile time only)
; SGPRBlocks: 5
; VGPRBlocks: 18
; NumSGPRsForWavesPerEU: 44
; NumVGPRsForWavesPerEU: 150
; Occupancy: 9
; WaveLimiterHint : 1
; COMPUTE_PGM_RSRC2:SCRATCH_EN: 0
; COMPUTE_PGM_RSRC2:USER_SGPR: 14
; COMPUTE_PGM_RSRC2:TRAP_HANDLER: 0
; COMPUTE_PGM_RSRC2:TGID_X_EN: 1
; COMPUTE_PGM_RSRC2:TGID_Y_EN: 1
; COMPUTE_PGM_RSRC2:TGID_Z_EN: 0
; COMPUTE_PGM_RSRC2:TIDIG_COMP_CNT: 0
	.text
	.p2alignl 7, 3214868480
	.fill 96, 4, 3214868480
	.type	__hip_cuid_6878bebd18523d63,@object ; @__hip_cuid_6878bebd18523d63
	.section	.bss,"aw",@nobits
	.globl	__hip_cuid_6878bebd18523d63
__hip_cuid_6878bebd18523d63:
	.byte	0                               ; 0x0
	.size	__hip_cuid_6878bebd18523d63, 1

	.ident	"AMD clang version 19.0.0git (https://github.com/RadeonOpenCompute/llvm-project roc-6.4.0 25133 c7fe45cf4b819c5991fe208aaa96edf142730f1d)"
	.section	".note.GNU-stack","",@progbits
	.addrsig
	.addrsig_sym __hip_cuid_6878bebd18523d63
	.amdgpu_metadata
---
amdhsa.kernels:
  - .args:
      - .actual_access:  read_only
        .address_space:  global
        .offset:         0
        .size:           8
        .value_kind:     global_buffer
      - .actual_access:  read_only
        .address_space:  global
        .offset:         8
        .size:           8
        .value_kind:     global_buffer
      - .actual_access:  read_only
        .address_space:  global
        .offset:         16
        .size:           8
        .value_kind:     global_buffer
      - .actual_access:  read_only
        .address_space:  global
        .offset:         24
        .size:           8
        .value_kind:     global_buffer
      - .actual_access:  read_only
        .address_space:  global
        .offset:         32
        .size:           8
        .value_kind:     global_buffer
      - .actual_access:  read_only
        .address_space:  global
        .offset:         40
        .size:           8
        .value_kind:     global_buffer
      - .actual_access:  write_only
        .address_space:  global
        .offset:         48
        .size:           8
        .value_kind:     global_buffer
    .group_segment_fixed_size: 0
    .kernarg_segment_align: 8
    .kernarg_segment_size: 56
    .language:       OpenCL C
    .language_version:
      - 2
      - 0
    .max_flat_workgroup_size: 1024
    .name:           _Z8loss_bwdI6__halfS0_EvPKT_PKT0_S6_PKlS3_S8_PS4_
    .private_segment_fixed_size: 0
    .sgpr_count:     22
    .sgpr_spill_count: 0
    .symbol:         _Z8loss_bwdI6__halfS0_EvPKT_PKT0_S6_PKlS3_S8_PS4_.kd
    .uniform_work_group_size: 1
    .uses_dynamic_stack: false
    .vgpr_count:     97
    .vgpr_spill_count: 0
    .wavefront_size: 32
    .workgroup_processor_mode: 1
  - .args:
      - .actual_access:  read_only
        .address_space:  global
        .offset:         0
        .size:           8
        .value_kind:     global_buffer
      - .actual_access:  read_only
        .address_space:  global
        .offset:         8
        .size:           8
        .value_kind:     global_buffer
      - .actual_access:  read_only
        .address_space:  global
        .offset:         16
        .size:           8
        .value_kind:     global_buffer
      - .actual_access:  read_only
        .address_space:  global
        .offset:         24
        .size:           8
        .value_kind:     global_buffer
      - .actual_access:  read_only
        .address_space:  global
        .offset:         32
        .size:           8
        .value_kind:     global_buffer
      - .actual_access:  read_only
        .address_space:  global
        .offset:         40
        .size:           8
        .value_kind:     global_buffer
      - .actual_access:  write_only
        .address_space:  global
        .offset:         48
        .size:           8
        .value_kind:     global_buffer
    .group_segment_fixed_size: 0
    .kernarg_segment_align: 8
    .kernarg_segment_size: 56
    .language:       OpenCL C
    .language_version:
      - 2
      - 0
    .max_flat_workgroup_size: 1024
    .name:           _Z8loss_bwdIffEvPKT_PKT0_S5_PKlS2_S7_PS3_
    .private_segment_fixed_size: 0
    .sgpr_count:     22
    .sgpr_spill_count: 0
    .symbol:         _Z8loss_bwdIffEvPKT_PKT0_S5_PKlS2_S7_PS3_.kd
    .uniform_work_group_size: 1
    .uses_dynamic_stack: false
    .vgpr_count:     94
    .vgpr_spill_count: 0
    .wavefront_size: 32
    .workgroup_processor_mode: 1
  - .args:
      - .actual_access:  read_only
        .address_space:  global
        .offset:         0
        .size:           8
        .value_kind:     global_buffer
      - .actual_access:  read_only
        .address_space:  global
        .offset:         8
        .size:           8
        .value_kind:     global_buffer
      - .actual_access:  read_only
        .address_space:  global
        .offset:         16
        .size:           8
        .value_kind:     global_buffer
      - .actual_access:  read_only
        .address_space:  global
        .offset:         24
        .size:           8
        .value_kind:     global_buffer
      - .actual_access:  read_only
        .address_space:  global
        .offset:         32
        .size:           8
        .value_kind:     global_buffer
      - .actual_access:  read_only
        .address_space:  global
        .offset:         40
        .size:           8
        .value_kind:     global_buffer
      - .actual_access:  write_only
        .address_space:  global
        .offset:         48
        .size:           8
        .value_kind:     global_buffer
    .group_segment_fixed_size: 0
    .kernarg_segment_align: 8
    .kernarg_segment_size: 56
    .language:       OpenCL C
    .language_version:
      - 2
      - 0
    .max_flat_workgroup_size: 1024
    .name:           _Z8loss_bwdIddEvPKT_PKT0_S5_PKlS2_S7_PS3_
    .private_segment_fixed_size: 0
    .sgpr_count:     44
    .sgpr_spill_count: 0
    .symbol:         _Z8loss_bwdIddEvPKT_PKT0_S5_PKlS2_S7_PS3_.kd
    .uniform_work_group_size: 1
    .uses_dynamic_stack: false
    .vgpr_count:     150
    .vgpr_spill_count: 0
    .wavefront_size: 32
    .workgroup_processor_mode: 1
amdhsa.target:   amdgcn-amd-amdhsa--gfx1100
amdhsa.version:
  - 1
  - 2
...

	.end_amdgpu_metadata
